;; amdgpu-corpus repo=ROCm/rocFFT kind=compiled arch=gfx1201 opt=O3
	.text
	.amdgcn_target "amdgcn-amd-amdhsa--gfx1201"
	.amdhsa_code_object_version 6
	.protected	fft_rtc_fwd_len3600_factors_10_10_6_6_wgs_120_tpt_120_halfLds_dp_ip_CI_unitstride_sbrr_R2C_dirReg ; -- Begin function fft_rtc_fwd_len3600_factors_10_10_6_6_wgs_120_tpt_120_halfLds_dp_ip_CI_unitstride_sbrr_R2C_dirReg
	.globl	fft_rtc_fwd_len3600_factors_10_10_6_6_wgs_120_tpt_120_halfLds_dp_ip_CI_unitstride_sbrr_R2C_dirReg
	.p2align	8
	.type	fft_rtc_fwd_len3600_factors_10_10_6_6_wgs_120_tpt_120_halfLds_dp_ip_CI_unitstride_sbrr_R2C_dirReg,@function
fft_rtc_fwd_len3600_factors_10_10_6_6_wgs_120_tpt_120_halfLds_dp_ip_CI_unitstride_sbrr_R2C_dirReg: ; @fft_rtc_fwd_len3600_factors_10_10_6_6_wgs_120_tpt_120_halfLds_dp_ip_CI_unitstride_sbrr_R2C_dirReg
; %bb.0:
	s_clause 0x2
	s_load_b128 s[4:7], s[0:1], 0x0
	s_load_b64 s[8:9], s[0:1], 0x50
	s_load_b64 s[10:11], s[0:1], 0x18
	v_mul_u32_u24_e32 v1, 0x223, v0
	v_mov_b32_e32 v3, 0
	s_delay_alu instid0(VALU_DEP_2) | instskip(NEXT) | instid1(VALU_DEP_1)
	v_lshrrev_b32_e32 v1, 16, v1
	v_add_nc_u32_e32 v5, ttmp9, v1
	v_mov_b32_e32 v1, 0
	v_mov_b32_e32 v2, 0
	;; [unrolled: 1-line block ×3, first 2 shown]
	s_wait_kmcnt 0x0
	v_cmp_lt_u64_e64 s2, s[6:7], 2
	s_delay_alu instid0(VALU_DEP_1)
	s_and_b32 vcc_lo, exec_lo, s2
	s_cbranch_vccnz .LBB0_8
; %bb.1:
	s_load_b64 s[2:3], s[0:1], 0x10
	v_mov_b32_e32 v1, 0
	v_mov_b32_e32 v2, 0
	s_add_nc_u64 s[12:13], s[10:11], 8
	s_mov_b64 s[14:15], 1
	s_wait_kmcnt 0x0
	s_add_nc_u64 s[16:17], s[2:3], 8
	s_mov_b32 s3, 0
.LBB0_2:                                ; =>This Inner Loop Header: Depth=1
	s_load_b64 s[18:19], s[16:17], 0x0
                                        ; implicit-def: $vgpr7_vgpr8
	s_mov_b32 s2, exec_lo
	s_wait_kmcnt 0x0
	v_or_b32_e32 v4, s19, v6
	s_delay_alu instid0(VALU_DEP_1)
	v_cmpx_ne_u64_e32 0, v[3:4]
	s_wait_alu 0xfffe
	s_xor_b32 s20, exec_lo, s2
	s_cbranch_execz .LBB0_4
; %bb.3:                                ;   in Loop: Header=BB0_2 Depth=1
	s_cvt_f32_u32 s2, s18
	s_cvt_f32_u32 s21, s19
	s_sub_nc_u64 s[24:25], 0, s[18:19]
	s_wait_alu 0xfffe
	s_delay_alu instid0(SALU_CYCLE_1) | instskip(SKIP_1) | instid1(SALU_CYCLE_2)
	s_fmamk_f32 s2, s21, 0x4f800000, s2
	s_wait_alu 0xfffe
	v_s_rcp_f32 s2, s2
	s_delay_alu instid0(TRANS32_DEP_1) | instskip(SKIP_1) | instid1(SALU_CYCLE_2)
	s_mul_f32 s2, s2, 0x5f7ffffc
	s_wait_alu 0xfffe
	s_mul_f32 s21, s2, 0x2f800000
	s_wait_alu 0xfffe
	s_delay_alu instid0(SALU_CYCLE_2) | instskip(SKIP_1) | instid1(SALU_CYCLE_2)
	s_trunc_f32 s21, s21
	s_wait_alu 0xfffe
	s_fmamk_f32 s2, s21, 0xcf800000, s2
	s_cvt_u32_f32 s23, s21
	s_wait_alu 0xfffe
	s_delay_alu instid0(SALU_CYCLE_1) | instskip(SKIP_1) | instid1(SALU_CYCLE_2)
	s_cvt_u32_f32 s22, s2
	s_wait_alu 0xfffe
	s_mul_u64 s[26:27], s[24:25], s[22:23]
	s_wait_alu 0xfffe
	s_mul_hi_u32 s29, s22, s27
	s_mul_i32 s28, s22, s27
	s_mul_hi_u32 s2, s22, s26
	s_mul_i32 s30, s23, s26
	s_wait_alu 0xfffe
	s_add_nc_u64 s[28:29], s[2:3], s[28:29]
	s_mul_hi_u32 s21, s23, s26
	s_mul_hi_u32 s31, s23, s27
	s_add_co_u32 s2, s28, s30
	s_wait_alu 0xfffe
	s_add_co_ci_u32 s2, s29, s21
	s_mul_i32 s26, s23, s27
	s_add_co_ci_u32 s27, s31, 0
	s_wait_alu 0xfffe
	s_add_nc_u64 s[26:27], s[2:3], s[26:27]
	s_wait_alu 0xfffe
	v_add_co_u32 v4, s2, s22, s26
	s_delay_alu instid0(VALU_DEP_1) | instskip(SKIP_1) | instid1(VALU_DEP_1)
	s_cmp_lg_u32 s2, 0
	s_add_co_ci_u32 s23, s23, s27
	v_readfirstlane_b32 s22, v4
	s_wait_alu 0xfffe
	s_delay_alu instid0(VALU_DEP_1)
	s_mul_u64 s[24:25], s[24:25], s[22:23]
	s_wait_alu 0xfffe
	s_mul_hi_u32 s27, s22, s25
	s_mul_i32 s26, s22, s25
	s_mul_hi_u32 s2, s22, s24
	s_mul_i32 s28, s23, s24
	s_wait_alu 0xfffe
	s_add_nc_u64 s[26:27], s[2:3], s[26:27]
	s_mul_hi_u32 s21, s23, s24
	s_mul_hi_u32 s22, s23, s25
	s_wait_alu 0xfffe
	s_add_co_u32 s2, s26, s28
	s_add_co_ci_u32 s2, s27, s21
	s_mul_i32 s24, s23, s25
	s_add_co_ci_u32 s25, s22, 0
	s_wait_alu 0xfffe
	s_add_nc_u64 s[24:25], s[2:3], s[24:25]
	s_wait_alu 0xfffe
	v_add_co_u32 v4, s2, v4, s24
	s_delay_alu instid0(VALU_DEP_1) | instskip(SKIP_1) | instid1(VALU_DEP_1)
	s_cmp_lg_u32 s2, 0
	s_add_co_ci_u32 s2, s23, s25
	v_mul_hi_u32 v13, v5, v4
	s_wait_alu 0xfffe
	v_mad_co_u64_u32 v[7:8], null, v5, s2, 0
	v_mad_co_u64_u32 v[9:10], null, v6, v4, 0
	;; [unrolled: 1-line block ×3, first 2 shown]
	s_delay_alu instid0(VALU_DEP_3) | instskip(SKIP_1) | instid1(VALU_DEP_4)
	v_add_co_u32 v4, vcc_lo, v13, v7
	s_wait_alu 0xfffd
	v_add_co_ci_u32_e32 v7, vcc_lo, 0, v8, vcc_lo
	s_delay_alu instid0(VALU_DEP_2) | instskip(SKIP_1) | instid1(VALU_DEP_2)
	v_add_co_u32 v4, vcc_lo, v4, v9
	s_wait_alu 0xfffd
	v_add_co_ci_u32_e32 v4, vcc_lo, v7, v10, vcc_lo
	s_wait_alu 0xfffd
	v_add_co_ci_u32_e32 v7, vcc_lo, 0, v12, vcc_lo
	s_delay_alu instid0(VALU_DEP_2) | instskip(SKIP_1) | instid1(VALU_DEP_2)
	v_add_co_u32 v4, vcc_lo, v4, v11
	s_wait_alu 0xfffd
	v_add_co_ci_u32_e32 v9, vcc_lo, 0, v7, vcc_lo
	s_delay_alu instid0(VALU_DEP_2) | instskip(SKIP_1) | instid1(VALU_DEP_3)
	v_mul_lo_u32 v10, s19, v4
	v_mad_co_u64_u32 v[7:8], null, s18, v4, 0
	v_mul_lo_u32 v11, s18, v9
	s_delay_alu instid0(VALU_DEP_2) | instskip(NEXT) | instid1(VALU_DEP_2)
	v_sub_co_u32 v7, vcc_lo, v5, v7
	v_add3_u32 v8, v8, v11, v10
	s_delay_alu instid0(VALU_DEP_1) | instskip(SKIP_1) | instid1(VALU_DEP_1)
	v_sub_nc_u32_e32 v10, v6, v8
	s_wait_alu 0xfffd
	v_subrev_co_ci_u32_e64 v10, s2, s19, v10, vcc_lo
	v_add_co_u32 v11, s2, v4, 2
	s_wait_alu 0xf1ff
	v_add_co_ci_u32_e64 v12, s2, 0, v9, s2
	v_sub_co_u32 v13, s2, v7, s18
	v_sub_co_ci_u32_e32 v8, vcc_lo, v6, v8, vcc_lo
	s_wait_alu 0xf1ff
	v_subrev_co_ci_u32_e64 v10, s2, 0, v10, s2
	s_delay_alu instid0(VALU_DEP_3) | instskip(NEXT) | instid1(VALU_DEP_3)
	v_cmp_le_u32_e32 vcc_lo, s18, v13
	v_cmp_eq_u32_e64 s2, s19, v8
	s_wait_alu 0xfffd
	v_cndmask_b32_e64 v13, 0, -1, vcc_lo
	v_cmp_le_u32_e32 vcc_lo, s19, v10
	s_wait_alu 0xfffd
	v_cndmask_b32_e64 v14, 0, -1, vcc_lo
	v_cmp_le_u32_e32 vcc_lo, s18, v7
	;; [unrolled: 3-line block ×3, first 2 shown]
	s_wait_alu 0xfffd
	v_cndmask_b32_e64 v15, 0, -1, vcc_lo
	v_cmp_eq_u32_e32 vcc_lo, s19, v10
	s_wait_alu 0xf1ff
	s_delay_alu instid0(VALU_DEP_2)
	v_cndmask_b32_e64 v7, v15, v7, s2
	s_wait_alu 0xfffd
	v_cndmask_b32_e32 v10, v14, v13, vcc_lo
	v_add_co_u32 v13, vcc_lo, v4, 1
	s_wait_alu 0xfffd
	v_add_co_ci_u32_e32 v14, vcc_lo, 0, v9, vcc_lo
	s_delay_alu instid0(VALU_DEP_3) | instskip(SKIP_2) | instid1(VALU_DEP_3)
	v_cmp_ne_u32_e32 vcc_lo, 0, v10
	s_wait_alu 0xfffd
	v_cndmask_b32_e32 v10, v13, v11, vcc_lo
	v_cndmask_b32_e32 v8, v14, v12, vcc_lo
	v_cmp_ne_u32_e32 vcc_lo, 0, v7
	s_wait_alu 0xfffd
	s_delay_alu instid0(VALU_DEP_2)
	v_dual_cndmask_b32 v7, v4, v10 :: v_dual_cndmask_b32 v8, v9, v8
.LBB0_4:                                ;   in Loop: Header=BB0_2 Depth=1
	s_wait_alu 0xfffe
	s_and_not1_saveexec_b32 s2, s20
	s_cbranch_execz .LBB0_6
; %bb.5:                                ;   in Loop: Header=BB0_2 Depth=1
	v_cvt_f32_u32_e32 v4, s18
	s_sub_co_i32 s20, 0, s18
	s_delay_alu instid0(VALU_DEP_1) | instskip(NEXT) | instid1(TRANS32_DEP_1)
	v_rcp_iflag_f32_e32 v4, v4
	v_mul_f32_e32 v4, 0x4f7ffffe, v4
	s_delay_alu instid0(VALU_DEP_1) | instskip(SKIP_1) | instid1(VALU_DEP_1)
	v_cvt_u32_f32_e32 v4, v4
	s_wait_alu 0xfffe
	v_mul_lo_u32 v7, s20, v4
	s_delay_alu instid0(VALU_DEP_1) | instskip(NEXT) | instid1(VALU_DEP_1)
	v_mul_hi_u32 v7, v4, v7
	v_add_nc_u32_e32 v4, v4, v7
	s_delay_alu instid0(VALU_DEP_1) | instskip(NEXT) | instid1(VALU_DEP_1)
	v_mul_hi_u32 v4, v5, v4
	v_mul_lo_u32 v7, v4, s18
	v_add_nc_u32_e32 v8, 1, v4
	s_delay_alu instid0(VALU_DEP_2) | instskip(NEXT) | instid1(VALU_DEP_1)
	v_sub_nc_u32_e32 v7, v5, v7
	v_subrev_nc_u32_e32 v9, s18, v7
	v_cmp_le_u32_e32 vcc_lo, s18, v7
	s_wait_alu 0xfffd
	s_delay_alu instid0(VALU_DEP_2) | instskip(NEXT) | instid1(VALU_DEP_1)
	v_dual_cndmask_b32 v7, v7, v9 :: v_dual_cndmask_b32 v4, v4, v8
	v_cmp_le_u32_e32 vcc_lo, s18, v7
	s_delay_alu instid0(VALU_DEP_2) | instskip(SKIP_1) | instid1(VALU_DEP_1)
	v_add_nc_u32_e32 v8, 1, v4
	s_wait_alu 0xfffd
	v_dual_cndmask_b32 v7, v4, v8 :: v_dual_mov_b32 v8, v3
.LBB0_6:                                ;   in Loop: Header=BB0_2 Depth=1
	s_wait_alu 0xfffe
	s_or_b32 exec_lo, exec_lo, s2
	s_load_b64 s[20:21], s[12:13], 0x0
	s_delay_alu instid0(VALU_DEP_1)
	v_mul_lo_u32 v4, v8, s18
	v_mul_lo_u32 v11, v7, s19
	v_mad_co_u64_u32 v[9:10], null, v7, s18, 0
	s_add_nc_u64 s[14:15], s[14:15], 1
	s_add_nc_u64 s[12:13], s[12:13], 8
	s_wait_alu 0xfffe
	v_cmp_ge_u64_e64 s2, s[14:15], s[6:7]
	s_add_nc_u64 s[16:17], s[16:17], 8
	s_delay_alu instid0(VALU_DEP_2) | instskip(NEXT) | instid1(VALU_DEP_3)
	v_add3_u32 v4, v10, v11, v4
	v_sub_co_u32 v5, vcc_lo, v5, v9
	s_wait_alu 0xfffd
	s_delay_alu instid0(VALU_DEP_2) | instskip(SKIP_3) | instid1(VALU_DEP_2)
	v_sub_co_ci_u32_e32 v4, vcc_lo, v6, v4, vcc_lo
	s_and_b32 vcc_lo, exec_lo, s2
	s_wait_kmcnt 0x0
	v_mul_lo_u32 v6, s21, v5
	v_mul_lo_u32 v4, s20, v4
	v_mad_co_u64_u32 v[1:2], null, s20, v5, v[1:2]
	s_delay_alu instid0(VALU_DEP_1)
	v_add3_u32 v2, v6, v2, v4
	s_wait_alu 0xfffe
	s_cbranch_vccnz .LBB0_9
; %bb.7:                                ;   in Loop: Header=BB0_2 Depth=1
	v_dual_mov_b32 v5, v7 :: v_dual_mov_b32 v6, v8
	s_branch .LBB0_2
.LBB0_8:
	v_dual_mov_b32 v8, v6 :: v_dual_mov_b32 v7, v5
.LBB0_9:
	s_lshl_b64 s[2:3], s[6:7], 3
	v_mul_hi_u32 v3, 0x2222223, v0
	s_wait_alu 0xfffe
	s_add_nc_u64 s[2:3], s[10:11], s[2:3]
	s_load_b64 s[0:1], s[0:1], 0x20
	s_load_b64 s[2:3], s[2:3], 0x0
	s_delay_alu instid0(VALU_DEP_1) | instskip(NEXT) | instid1(VALU_DEP_1)
	v_mul_u32_u24_e32 v3, 0x78, v3
	v_sub_nc_u32_e32 v116, v0, v3
	s_delay_alu instid0(VALU_DEP_1)
	v_add_nc_u32_e32 v121, 0x78, v116
	v_add_nc_u32_e32 v124, 0xf0, v116
	;; [unrolled: 1-line block ×4, first 2 shown]
	s_wait_kmcnt 0x0
	v_cmp_gt_u64_e32 vcc_lo, s[0:1], v[7:8]
	v_mul_lo_u32 v3, s2, v8
	v_mul_lo_u32 v4, s3, v7
	v_mad_co_u64_u32 v[0:1], null, s2, v7, v[1:2]
	v_cmp_le_u64_e64 s0, s[0:1], v[7:8]
	s_delay_alu instid0(VALU_DEP_2) | instskip(NEXT) | instid1(VALU_DEP_2)
	v_add3_u32 v1, v4, v1, v3
	s_and_saveexec_b32 s1, s0
	s_wait_alu 0xfffe
	s_xor_b32 s0, exec_lo, s1
; %bb.10:
	v_add_nc_u32_e32 v121, 0x78, v116
	v_add_nc_u32_e32 v124, 0xf0, v116
	;; [unrolled: 1-line block ×4, first 2 shown]
; %bb.11:
	s_wait_alu 0xfffe
	s_or_saveexec_b32 s1, s0
	v_lshlrev_b64_e32 v[118:119], 4, v[0:1]
	s_wait_alu 0xfffe
	s_xor_b32 exec_lo, exec_lo, s1
	s_cbranch_execz .LBB0_13
; %bb.12:
	v_mov_b32_e32 v117, 0
	s_delay_alu instid0(VALU_DEP_2) | instskip(SKIP_2) | instid1(VALU_DEP_3)
	v_add_co_u32 v2, s0, s8, v118
	s_wait_alu 0xf1ff
	v_add_co_ci_u32_e64 v3, s0, s9, v119, s0
	v_lshlrev_b64_e32 v[0:1], 4, v[116:117]
	v_lshl_add_u32 v117, v116, 4, 0
	s_delay_alu instid0(VALU_DEP_2) | instskip(SKIP_1) | instid1(VALU_DEP_3)
	v_add_co_u32 v125, s0, v2, v0
	s_wait_alu 0xf1ff
	v_add_co_ci_u32_e64 v126, s0, v3, v1, s0
	s_clause 0x1d
	global_load_b128 v[0:3], v[125:126], off
	global_load_b128 v[4:7], v[125:126], off offset:1920
	global_load_b128 v[8:11], v[125:126], off offset:3840
	;; [unrolled: 1-line block ×29, first 2 shown]
	s_wait_loadcnt 0x1d
	ds_store_b128 v117, v[0:3]
	s_wait_loadcnt 0x1c
	ds_store_b128 v117, v[4:7] offset:1920
	s_wait_loadcnt 0x1b
	ds_store_b128 v117, v[8:11] offset:3840
	;; [unrolled: 2-line block ×29, first 2 shown]
.LBB0_13:
	s_or_b32 exec_lo, exec_lo, s1
	v_lshlrev_b32_e32 v117, 4, v116
	global_wb scope:SCOPE_SE
	s_wait_dscnt 0x0
	s_barrier_signal -1
	s_barrier_wait -1
	global_inv scope:SCOPE_SE
	v_add_nc_u32_e32 v179, 0, v117
	s_mov_b32 s0, 0x134454ff
	s_mov_b32 s1, 0x3fee6f0e
	;; [unrolled: 1-line block ×3, first 2 shown]
	s_wait_alu 0xfffe
	s_mov_b32 s2, s0
	ds_load_b128 v[0:3], v179 offset:11520
	ds_load_b128 v[24:27], v179 offset:5760
	ds_load_b128 v[36:39], v179
	ds_load_b128 v[40:43], v179 offset:17280
	ds_load_b128 v[32:35], v179 offset:1920
	;; [unrolled: 1-line block ×19, first 2 shown]
	s_wait_dscnt 0x13
	v_add_f64_e32 v[129:130], v[36:37], v[0:1]
	ds_load_b128 v[92:95], v179 offset:19200
	ds_load_b128 v[96:99], v179 offset:21120
	;; [unrolled: 1-line block ×8, first 2 shown]
	s_wait_dscnt 0x18
	v_add_f64_e32 v[147:148], v[34:35], v[18:19]
	v_add_f64_e32 v[131:132], v[38:39], v[2:3]
	;; [unrolled: 1-line block ×4, first 2 shown]
	s_wait_dscnt 0x15
	v_add_f64_e32 v[137:138], v[44:45], v[28:29]
	s_wait_dscnt 0x13
	v_add_f64_e64 v[139:140], v[2:3], -v[10:11]
	v_add_f64_e64 v[143:144], v[0:1], -v[44:45]
	v_add_f64_e32 v[151:152], v[0:1], v[8:9]
	v_add_f64_e64 v[153:154], v[44:45], -v[0:1]
	v_add_f64_e32 v[157:158], v[46:47], v[30:31]
	v_add_f64_e64 v[159:160], v[0:1], -v[8:9]
	v_add_f64_e64 v[161:162], v[44:45], -v[28:29]
	;; [unrolled: 1-line block ×4, first 2 shown]
	v_add_f64_e32 v[0:1], v[2:3], v[10:11]
	s_wait_dscnt 0xd
	v_add_f64_e32 v[2:3], v[60:61], v[68:69]
	s_wait_dscnt 0xb
	v_add_f64_e32 v[167:168], v[40:41], v[76:77]
	v_add_f64_e32 v[169:170], v[62:63], v[70:71]
	;; [unrolled: 1-line block ×7, first 2 shown]
	s_wait_dscnt 0x3
	v_add_f64_e32 v[182:183], v[100:101], v[108:109]
	s_wait_dscnt 0x1
	v_add_f64_e32 v[184:185], v[92:93], v[125:126]
	v_add_f64_e32 v[186:187], v[102:103], v[110:111]
	v_add_f64_e64 v[141:142], v[46:47], -v[30:31]
	v_add_f64_e32 v[145:146], v[32:33], v[16:17]
	v_add_f64_e64 v[149:150], v[8:9], -v[28:29]
	v_add_f64_e64 v[155:156], v[28:29], -v[8:9]
	v_add_f64_e32 v[198:199], v[84:85], v[92:93]
	v_add_f64_e32 v[200:201], v[86:87], v[94:95]
	v_add_f64_e64 v[188:189], v[30:31], -v[10:11]
	v_add_f64_e64 v[192:193], v[40:41], -v[60:61]
	;; [unrolled: 1-line block ×3, first 2 shown]
	v_add_f64_e32 v[44:45], v[129:130], v[44:45]
	v_add_f64_e32 v[129:130], v[94:95], v[127:128]
	v_add_f64_e64 v[202:203], v[76:77], -v[68:69]
	v_add_f64_e32 v[147:148], v[147:148], v[22:23]
	v_add_f64_e32 v[46:47], v[131:132], v[46:47]
	;; [unrolled: 1-line block ×4, first 2 shown]
	v_fma_f64 v[137:138], v[137:138], -0.5, v[36:37]
	v_add_f64_e64 v[131:132], v[10:11], -v[30:31]
	v_add_f64_e64 v[60:61], v[60:61], -v[68:69]
	v_fma_f64 v[36:37], v[151:152], -0.5, v[36:37]
	v_add_f64_e64 v[204:205], v[68:69], -v[76:77]
	v_fma_f64 v[151:152], v[157:158], -0.5, v[38:39]
	v_add_f64_e64 v[190:191], v[62:63], -v[70:71]
	v_add_f64_e64 v[196:197], v[42:43], -v[62:63]
	v_add_f64_e64 v[62:63], v[62:63], -v[42:43]
	v_add_f64_e64 v[42:43], v[42:43], -v[78:79]
	v_fma_f64 v[38:39], v[0:1], -0.5, v[38:39]
	v_fma_f64 v[157:158], v[2:3], -0.5, v[24:25]
	;; [unrolled: 1-line block ×12, first 2 shown]
	v_add_f64_e64 v[182:183], v[6:7], -v[14:15]
	v_add_f64_e64 v[184:185], v[14:15], -v[6:7]
	v_add_f64_e32 v[34:35], v[50:51], v[58:59]
	v_add_f64_e32 v[145:146], v[145:146], v[20:21]
	v_add_f64_e64 v[206:207], v[78:79], -v[70:71]
	v_add_f64_e64 v[208:209], v[70:71], -v[78:79]
	;; [unrolled: 1-line block ×5, first 2 shown]
	v_add_f64_e32 v[0:1], v[44:45], v[28:29]
	v_fma_f64 v[28:29], v[129:130], -0.5, v[86:87]
	v_add_f64_e64 v[44:45], v[22:23], -v[14:15]
	v_add_f64_e64 v[86:87], v[18:19], -v[22:23]
	;; [unrolled: 1-line block ×3, first 2 shown]
	v_add_f64_e32 v[22:23], v[147:148], v[14:15]
	v_add_f64_e32 v[14:15], v[48:49], v[56:57]
	;; [unrolled: 1-line block ×3, first 2 shown]
	v_add_f64_e64 v[46:47], v[16:17], -v[20:21]
	v_add_f64_e32 v[30:31], v[133:134], v[68:69]
	v_add_f64_e32 v[32:33], v[135:136], v[70:71]
	v_add_f64_e64 v[68:69], v[20:21], -v[16:17]
	v_add_f64_e64 v[133:134], v[18:19], -v[6:7]
	v_add_f64_e64 v[135:136], v[16:17], -v[4:5]
	v_add_f64_e32 v[16:17], v[198:199], v[100:101]
	v_add_f64_e32 v[18:19], v[200:201], v[102:103]
	v_add_f64_e64 v[70:71], v[20:21], -v[12:13]
	v_add_f64_e64 v[147:148], v[12:13], -v[4:5]
	;; [unrolled: 1-line block ×6, first 2 shown]
	v_add_f64_e32 v[212:213], v[66:67], v[74:75]
	v_add_f64_e64 v[214:215], v[58:59], -v[66:67]
	v_add_f64_e64 v[216:217], v[58:59], -v[82:83]
	v_add_f64_e32 v[218:219], v[56:57], v[80:81]
	v_add_f64_e64 v[220:221], v[80:81], -v[72:73]
	v_add_f64_e64 v[222:223], v[82:83], -v[74:75]
	s_mov_b32 s6, 0x4755a5e
	s_mov_b32 s7, 0x3fe2cf23
	;; [unrolled: 1-line block ×3, first 2 shown]
	v_add_f64_e32 v[34:35], v[34:35], v[66:67]
	v_add_f64_e32 v[20:21], v[145:146], v[12:13]
	v_add_f64_e64 v[145:146], v[4:5], -v[12:13]
	v_add_f64_e64 v[12:13], v[92:93], -v[100:101]
	;; [unrolled: 1-line block ×3, first 2 shown]
	s_wait_alu 0xfffe
	s_mov_b32 s10, s6
	v_add_f64_e32 v[62:63], v[62:63], v[208:209]
	v_add_f64_e32 v[0:1], v[0:1], v[8:9]
	s_mov_b32 s12, 0x372fe950
	s_mov_b32 s13, 0x3fd3c6ef
	v_add_f64_e32 v[131:132], v[163:164], v[131:132]
	v_fma_f64 v[163:164], v[159:160], s[2:3], v[151:152]
	v_fma_f64 v[151:152], v[159:160], s[0:1], v[151:152]
	v_add_f64_e32 v[14:15], v[14:15], v[64:65]
	v_add_f64_e32 v[2:3], v[2:3], v[10:11]
	s_mov_b32 s14, 0x9b97f4a8
	v_add_f64_e32 v[8:9], v[30:31], v[76:77]
	v_add_f64_e32 v[10:11], v[32:33], v[78:79]
	;; [unrolled: 1-line block ×3, first 2 shown]
	v_add_f64_e64 v[22:23], v[108:109], -v[125:126]
	v_add_f64_e64 v[30:31], v[127:128], -v[110:111]
	v_add_f64_e32 v[16:17], v[16:17], v[108:109]
	v_add_f64_e32 v[18:19], v[18:19], v[110:111]
	s_mov_b32 s15, 0x3fe9e377
	v_add_f64_e32 v[153:154], v[153:154], v[155:156]
	v_add_f64_e32 v[155:156], v[165:166], v[188:189]
	;; [unrolled: 1-line block ×7, first 2 shown]
	global_wb scope:SCOPE_SE
	s_wait_dscnt 0x0
	s_barrier_signal -1
	s_barrier_wait -1
	global_inv scope:SCOPE_SE
	v_lshl_add_u32 v182, v123, 4, 0
	v_add_f64_e32 v[76:77], v[20:21], v[4:5]
	v_add_f64_e64 v[20:21], v[92:93], -v[125:126]
	v_add_f64_e64 v[4:5], v[125:126], -v[108:109]
	;; [unrolled: 1-line block ×3, first 2 shown]
	v_add_f64_e32 v[46:47], v[46:47], v[145:146]
	v_fma_f64 v[163:164], v[161:162], s[10:11], v[163:164]
	v_fma_f64 v[151:152], v[161:162], s[6:7], v[151:152]
	v_add_f64_e32 v[6:7], v[14:15], v[72:73]
	v_add_f64_e32 v[14:15], v[34:35], v[74:75]
	;; [unrolled: 1-line block ×3, first 2 shown]
	v_add_f64_e64 v[0:1], v[0:1], -v[8:9]
	v_add_f64_e32 v[8:9], v[192:193], v[202:203]
	v_add_f64_e32 v[34:35], v[2:3], v[10:11]
	v_add_f64_e64 v[2:3], v[2:3], -v[10:11]
	v_add_f64_e32 v[108:109], v[16:17], v[125:126]
	v_add_f64_e32 v[110:111], v[18:19], v[127:128]
	;; [unrolled: 1-line block ×3, first 2 shown]
	v_add_f64_e64 v[125:126], v[66:67], -v[74:75]
	v_add_f64_e64 v[127:128], v[56:57], -v[64:65]
	;; [unrolled: 1-line block ×5, first 2 shown]
	v_add_f64_e32 v[58:59], v[58:59], v[82:83]
	v_add_f64_e64 v[72:73], v[72:73], -v[80:81]
	v_add_f64_e64 v[74:75], v[74:75], -v[82:83]
	v_fma_f64 v[16:17], v[190:191], s[0:1], v[24:25]
	v_add_f64_e32 v[10:11], v[196:197], v[206:207]
	v_add_f64_e32 v[165:166], v[165:166], v[104:105]
	;; [unrolled: 1-line block ×3, first 2 shown]
	v_add_f64_e64 v[192:193], v[104:105], -v[96:97]
	v_fma_f64 v[196:197], v[186:187], s[2:3], v[84:85]
	v_fma_f64 v[84:85], v[186:187], s[0:1], v[84:85]
	v_add_f64_e64 v[202:203], v[52:53], -v[112:113]
	v_add_f64_e64 v[206:207], v[112:113], -v[52:53]
	v_add_f64_e32 v[92:93], v[102:103], v[92:93]
	v_fma_f64 v[163:164], v[131:132], s[12:13], v[163:164]
	v_fma_f64 v[131:132], v[131:132], s[12:13], v[151:152]
	v_add_f64_e32 v[80:81], v[6:7], v[80:81]
	v_add_f64_e32 v[82:83], v[14:15], v[82:83]
	;; [unrolled: 1-line block ×3, first 2 shown]
	v_fma_f64 v[14:15], v[190:191], s[2:3], v[24:25]
	v_fma_f64 v[143:144], v[42:43], s[0:1], v[157:158]
	;; [unrolled: 1-line block ×3, first 2 shown]
	v_add_f64_e32 v[24:25], v[194:195], v[204:205]
	v_fma_f64 v[26:27], v[60:61], s[2:3], v[26:27]
	v_fma_f64 v[194:195], v[94:95], s[0:1], v[177:178]
	;; [unrolled: 1-line block ×4, first 2 shown]
	v_add_f64_e32 v[127:128], v[127:128], v[220:221]
	v_add_f64_e32 v[72:73], v[210:211], v[72:73]
	;; [unrolled: 1-line block ×3, first 2 shown]
	v_fma_f64 v[16:17], v[42:43], s[10:11], v[16:17]
	v_fma_f64 v[84:85], v[94:95], s[10:11], v[84:85]
	;; [unrolled: 1-line block ×26, first 2 shown]
	v_mul_f64_e32 v[139:140], s[2:3], v[14:15]
	v_fma_f64 v[8:9], v[8:9], s[12:13], v[42:43]
	v_fma_f64 v[157:158], v[10:11], s[12:13], v[157:158]
	;; [unrolled: 1-line block ×4, first 2 shown]
	s_wait_alu 0xfffe
	v_mul_f64_e32 v[26:27], s[14:15], v[143:144]
	v_mul_f64_e32 v[42:43], s[10:11], v[143:144]
	;; [unrolled: 1-line block ×3, first 2 shown]
	v_fma_f64 v[143:144], v[141:142], s[6:7], v[167:168]
	v_fma_f64 v[137:138], v[141:142], s[10:11], v[137:138]
	;; [unrolled: 1-line block ×3, first 2 shown]
	v_add_f64_e32 v[60:61], v[104:105], v[112:113]
	v_add_f64_e32 v[141:142], v[96:97], v[52:53]
	v_add_f64_e32 v[159:160], v[106:107], v[114:115]
	v_add_f64_e32 v[167:168], v[98:99], v[54:55]
	v_fma_f64 v[40:41], v[153:154], s[12:13], v[40:41]
	v_fma_f64 v[153:154], v[153:154], s[12:13], v[36:37]
	v_mul_f64_e32 v[36:37], s[12:13], v[16:17]
	v_fma_f64 v[139:140], v[149:150], s[12:13], v[139:140]
	v_add_f64_e64 v[149:150], v[106:107], -v[114:115]
	v_fma_f64 v[161:162], v[155:156], s[12:13], v[190:191]
	v_fma_f64 v[155:156], v[155:156], s[12:13], v[38:39]
	v_mul_f64_e32 v[38:39], s[12:13], v[24:25]
	v_mul_f64_e32 v[190:191], s[14:15], v[8:9]
	v_fma_f64 v[26:27], v[157:158], s[6:7], v[26:27]
	v_fma_f64 v[42:43], v[157:158], s[14:15], v[42:43]
	;; [unrolled: 1-line block ×3, first 2 shown]
	v_add_f64_e64 v[157:158], v[96:97], -v[104:105]
	v_fma_f64 v[60:61], v[60:61], -0.5, v[88:89]
	v_fma_f64 v[88:89], v[141:142], -0.5, v[88:89]
	;; [unrolled: 1-line block ×4, first 2 shown]
	v_add_f64_e64 v[104:105], v[104:105], -v[112:113]
	v_add_f64_e64 v[159:160], v[98:99], -v[106:107]
	;; [unrolled: 1-line block ×4, first 2 shown]
	v_mul_f64_e32 v[14:15], s[14:15], v[10:11]
	v_fma_f64 v[143:144], v[6:7], s[12:13], v[143:144]
	v_add_f64_e64 v[96:97], v[96:97], -v[52:53]
	v_add_f64_e32 v[167:168], v[12:13], v[4:5]
	v_fma_f64 v[137:138], v[6:7], s[12:13], v[137:138]
	v_fma_f64 v[24:25], v[24:25], s[0:1], -v[36:37]
	v_fma_f64 v[204:205], v[16:17], s[2:3], -v[38:39]
	v_fma_f64 v[16:17], v[94:95], s[2:3], v[177:178]
	v_fma_f64 v[177:178], v[10:11], s[6:7], -v[190:191]
	v_add_f64_e32 v[38:39], v[163:164], v[42:43]
	v_add_f64_e64 v[6:7], v[163:164], -v[42:43]
	v_add_f64_e32 v[12:13], v[40:41], v[62:63]
	v_add_f64_e64 v[10:11], v[161:162], -v[139:140]
	v_add_f64_e64 v[42:43], v[114:115], -v[54:55]
	v_fma_f64 v[163:164], v[94:95], s[6:7], v[196:197]
	v_add_f64_e64 v[94:95], v[54:55], -v[114:115]
	v_fma_f64 v[102:103], v[104:105], s[0:1], v[90:91]
	v_fma_f64 v[90:91], v[104:105], s[2:3], v[90:91]
	v_add_f64_e32 v[157:158], v[157:158], v[202:203]
	v_add_f64_e32 v[114:115], v[188:189], v[114:115]
	v_fma_f64 v[190:191], v[8:9], s[10:11], -v[14:15]
	v_add_f64_e32 v[36:37], v[143:144], v[26:27]
	v_add_f64_e64 v[4:5], v[143:144], -v[26:27]
	v_add_f64_e32 v[14:15], v[161:162], v[139:140]
	v_add_f64_e64 v[8:9], v[40:41], -v[62:63]
	v_fma_f64 v[26:27], v[20:21], s[0:1], v[180:181]
	v_add_f64_e32 v[40:41], v[200:201], v[30:31]
	v_fma_f64 v[30:31], v[98:99], s[0:1], v[60:61]
	v_fma_f64 v[62:63], v[20:21], s[2:3], v[180:181]
	;; [unrolled: 1-line block ×8, first 2 shown]
	v_add_f64_e32 v[143:144], v[198:199], v[22:23]
	v_add_f64_e32 v[20:21], v[153:154], v[24:25]
	v_fma_f64 v[141:142], v[96:97], s[2:3], v[141:142]
	v_fma_f64 v[198:199], v[212:213], -0.5, v[50:51]
	v_fma_f64 v[50:51], v[58:59], -0.5, v[50:51]
	v_add_f64_e32 v[22:23], v[155:156], v[204:205]
	v_fma_f64 v[186:187], v[186:187], s[10:11], v[16:17]
	v_add_f64_e64 v[16:17], v[153:154], -v[24:25]
	v_fma_f64 v[153:154], v[18:19], -0.5, v[48:49]
	v_fma_f64 v[48:49], v[218:219], -0.5, v[48:49]
	v_add_f64_e32 v[24:25], v[137:138], v[177:178]
	v_add_f64_e64 v[18:19], v[155:156], -v[204:205]
	v_add_f64_e32 v[42:43], v[106:107], v[42:43]
	v_fma_f64 v[155:156], v[135:136], s[2:3], v[173:174]
	v_fma_f64 v[102:103], v[96:97], s[10:11], v[102:103]
	v_add_f64_e32 v[114:115], v[114:115], v[54:55]
	v_fma_f64 v[194:195], v[100:101], s[6:7], v[26:27]
	v_add_f64_e32 v[26:27], v[131:132], v[190:191]
	v_fma_f64 v[196:197], v[149:150], s[6:7], v[30:31]
	v_fma_f64 v[62:63], v[100:101], s[10:11], v[62:63]
	v_fma_f64 v[100:101], v[167:168], s[12:13], v[139:140]
	v_add_f64_e32 v[139:140], v[192:193], v[206:207]
	v_fma_f64 v[106:107], v[98:99], s[6:7], v[161:162]
	v_fma_f64 v[58:59], v[98:99], s[10:11], v[88:89]
	;; [unrolled: 1-line block ×4, first 2 shown]
	v_add_f64_e32 v[90:91], v[159:160], v[94:95]
	v_fma_f64 v[94:95], v[104:105], s[6:7], v[28:29]
	v_add_f64_e64 v[28:29], v[137:138], -v[177:178]
	v_add_f64_e64 v[30:31], v[131:132], -v[190:191]
	v_add_f64_e32 v[96:97], v[165:166], v[112:113]
	v_fma_f64 v[98:99], v[44:45], s[2:3], v[171:172]
	v_fma_f64 v[112:113], v[92:93], s[12:13], v[151:152]
	;; [unrolled: 1-line block ×23, first 2 shown]
	v_mul_f64_e32 v[62:63], s[14:15], v[100:101]
	v_mul_f64_e32 v[100:101], s[10:11], v[100:101]
	v_fma_f64 v[106:107], v[139:140], s[12:13], v[106:107]
	v_fma_f64 v[58:59], v[139:140], s[12:13], v[58:59]
	;; [unrolled: 1-line block ×7, first 2 shown]
	v_add_f64_e32 v[157:158], v[214:215], v[222:223]
	v_add_f64_e32 v[96:97], v[96:97], v[52:53]
	v_fma_f64 v[98:99], v[133:134], s[6:7], v[98:99]
	v_mul_f64_e32 v[147:148], s[0:1], v[112:113]
	v_mul_f64_e32 v[153:154], s[2:3], v[131:132]
	v_fma_f64 v[133:134], v[133:134], s[10:11], v[137:138]
	v_fma_f64 v[137:138], v[135:136], s[10:11], v[149:150]
	;; [unrolled: 1-line block ×6, first 2 shown]
	v_mul_f64_e32 v[155:156], s[12:13], v[84:85]
	v_fma_f64 v[70:71], v[70:71], s[6:7], v[143:144]
	v_mul_f64_e32 v[143:144], s[12:13], v[92:93]
	v_mul_f64_e32 v[159:160], s[14:15], v[145:146]
	v_fma_f64 v[90:91], v[90:91], s[12:13], v[104:105]
	v_fma_f64 v[165:166], v[125:126], s[6:7], v[165:166]
	;; [unrolled: 1-line block ×3, first 2 shown]
	v_mul_f64_e32 v[74:75], s[0:1], v[102:103]
	v_fma_f64 v[169:170], v[216:217], s[6:7], v[169:170]
	v_fma_f64 v[171:172], v[56:57], s[10:11], v[171:172]
	;; [unrolled: 1-line block ×4, first 2 shown]
	v_mul_f64_e32 v[161:162], s[14:15], v[163:164]
	v_mul_f64_e32 v[104:105], s[14:15], v[141:142]
	;; [unrolled: 1-line block ×3, first 2 shown]
	v_fma_f64 v[52:53], v[40:41], s[6:7], v[62:63]
	v_fma_f64 v[54:55], v[40:41], s[14:15], v[100:101]
	v_mul_f64_e32 v[173:174], s[2:3], v[106:107]
	v_mul_f64_e32 v[56:57], s[12:13], v[58:59]
	;; [unrolled: 1-line block ×3, first 2 shown]
	v_fma_f64 v[88:89], v[125:126], s[10:11], v[88:89]
	v_fma_f64 v[64:65], v[64:65], s[6:7], v[139:140]
	v_mul_f64_e32 v[125:126], s[14:15], v[60:61]
	v_mul_f64_e32 v[139:140], s[14:15], v[94:95]
	v_mul_u32_u24_e32 v40, 10, v116
	v_fma_f64 v[98:99], v[68:69], s[12:13], v[98:99]
	v_fma_f64 v[62:63], v[131:132], s[12:13], v[147:148]
	;; [unrolled: 1-line block ×9, first 2 shown]
	v_fma_f64 v[92:93], v[92:93], s[0:1], -v[155:156]
	v_fma_f64 v[70:71], v[86:87], s[12:13], v[70:71]
	v_fma_f64 v[84:85], v[84:85], s[2:3], -v[143:144]
	v_fma_f64 v[86:87], v[163:164], s[6:7], -v[159:160]
	v_lshl_add_u32 v122, v40, 4, 0
	ds_store_b128 v122, v[32:35]
	ds_store_b128 v122, v[36:39] offset:16
	v_fma_f64 v[143:144], v[157:158], s[12:13], v[167:168]
	v_fma_f64 v[106:107], v[106:107], s[12:13], v[74:75]
	;; [unrolled: 1-line block ×4, first 2 shown]
	v_fma_f64 v[137:138], v[145:146], s[10:11], -v[161:162]
	v_fma_f64 v[145:146], v[72:73], s[12:13], v[169:170]
	v_fma_f64 v[104:105], v[90:91], s[6:7], v[104:105]
	;; [unrolled: 1-line block ×6, first 2 shown]
	v_fma_f64 v[153:154], v[42:43], s[0:1], -v[56:57]
	v_fma_f64 v[155:156], v[58:59], s[2:3], -v[175:176]
	v_fma_f64 v[127:128], v[127:128], s[12:13], v[88:89]
	v_fma_f64 v[157:158], v[157:158], s[12:13], v[64:65]
	v_fma_f64 v[125:126], v[94:95], s[6:7], -v[125:126]
	v_fma_f64 v[139:140], v[60:61], s[10:11], -v[139:140]
	v_add_f64_e32 v[32:33], v[76:77], v[108:109]
	v_add_f64_e32 v[34:35], v[78:79], v[110:111]
	v_add_f64_e64 v[38:39], v[78:79], -v[110:111]
	v_add_f64_e32 v[48:49], v[98:99], v[62:63]
	v_add_f64_e32 v[74:75], v[82:83], v[114:115]
	v_add_f64_e64 v[78:79], v[82:83], -v[114:115]
	;; [unrolled: 3-line block ×3, first 2 shown]
	v_and_b32_e32 v113, 0xff, v116
	v_add_f64_e64 v[46:47], v[131:132], -v[54:55]
	v_add_f64_e64 v[52:53], v[98:99], -v[62:63]
	v_add_f64_e32 v[56:57], v[68:69], v[92:93]
	v_add_f64_e32 v[58:59], v[129:130], v[84:85]
	v_add_f64_e64 v[60:61], v[68:69], -v[92:93]
	v_add_f64_e64 v[62:63], v[129:130], -v[84:85]
	v_add_f64_e32 v[64:65], v[135:136], v[86:87]
	v_add_f64_e64 v[68:69], v[135:136], -v[86:87]
	v_add_f64_e64 v[36:37], v[76:77], -v[108:109]
	v_add_f64_e32 v[42:43], v[131:132], v[54:55]
	v_add_f64_e64 v[54:55], v[133:134], -v[100:101]
	v_add_f64_e32 v[72:73], v[80:81], v[96:97]
	v_add_f64_e64 v[76:77], v[80:81], -v[96:97]
	ds_store_b128 v122, v[12:15] offset:32
	ds_store_b128 v122, v[20:23] offset:48
	;; [unrolled: 1-line block ×4, first 2 shown]
	v_mul_lo_u16 v0, 0xcd, v113
	v_add_f64_e32 v[66:67], v[70:71], v[137:138]
	v_add_f64_e32 v[88:89], v[145:146], v[106:107]
	v_add_f64_e64 v[70:71], v[70:71], -v[137:138]
	v_add_f64_e32 v[82:83], v[143:144], v[90:91]
	v_add_f64_e64 v[84:85], v[141:142], -v[104:105]
	v_add_f64_e64 v[86:87], v[143:144], -v[90:91]
	v_add_f64_e32 v[90:91], v[147:148], v[102:103]
	v_add_f64_e32 v[92:93], v[149:150], v[153:154]
	;; [unrolled: 1-line block ×3, first 2 shown]
	v_add_f64_e64 v[100:101], v[145:146], -v[106:107]
	v_add_f64_e64 v[102:103], v[147:148], -v[102:103]
	v_add_f64_e32 v[80:81], v[141:142], v[104:105]
	v_add_f64_e32 v[96:97], v[127:128], v[125:126]
	;; [unrolled: 1-line block ×3, first 2 shown]
	v_add_f64_e64 v[104:105], v[149:150], -v[153:154]
	v_add_f64_e64 v[106:107], v[151:152], -v[155:156]
	v_add_f64_e64 v[108:109], v[127:128], -v[125:126]
	v_add_f64_e64 v[110:111], v[157:158], -v[139:140]
	v_lshrrev_b16 v176, 11, v0
	v_mul_i32_i24_e32 v0, 10, v124
	v_mul_i32_i24_e32 v112, 10, v121
	ds_store_b128 v122, v[4:7] offset:96
	ds_store_b128 v122, v[8:11] offset:112
	;; [unrolled: 1-line block ×4, first 2 shown]
	v_and_b32_e32 v175, 0xff, v121
	v_mul_lo_u16 v1, v176, 10
	v_lshl_add_u32 v180, v0, 4, 0
	v_lshl_add_u32 v181, v112, 4, 0
	ds_store_b128 v181, v[32:35]
	ds_store_b128 v181, v[40:43] offset:16
	v_sub_nc_u16 v0, v116, v1
	ds_store_b128 v181, v[48:51] offset:32
	ds_store_b128 v181, v[56:59] offset:48
	;; [unrolled: 1-line block ×4, first 2 shown]
	v_and_b32_e32 v177, 0xff, v0
	ds_store_b128 v181, v[44:47] offset:96
	ds_store_b128 v181, v[52:55] offset:112
	;; [unrolled: 1-line block ×4, first 2 shown]
	ds_store_b128 v180, v[72:75]
	ds_store_b128 v180, v[80:83] offset:16
	v_mul_u32_u24_e32 v0, 9, v177
	ds_store_b128 v180, v[88:91] offset:32
	ds_store_b128 v180, v[92:95] offset:48
	;; [unrolled: 1-line block ×8, first 2 shown]
	v_lshlrev_b32_e32 v0, 4, v0
	global_wb scope:SCOPE_SE
	s_wait_dscnt 0x0
	s_barrier_signal -1
	s_barrier_wait -1
	global_inv scope:SCOPE_SE
	s_clause 0x8
	global_load_b128 v[48:51], v0, s[4:5]
	global_load_b128 v[68:71], v0, s[4:5] offset:16
	global_load_b128 v[64:67], v0, s[4:5] offset:32
	;; [unrolled: 1-line block ×8, first 2 shown]
	v_mul_lo_u16 v1, 0xcd, v175
	v_mad_i32_i24 v122, 0xffffff70, v121, v181
	v_mad_i32_i24 v183, 0xffffff70, v124, v180
	s_delay_alu instid0(VALU_DEP_3) | instskip(NEXT) | instid1(VALU_DEP_1)
	v_lshrrev_b16 v184, 11, v1
	v_mul_lo_u16 v1, v184, 10
	s_delay_alu instid0(VALU_DEP_1) | instskip(NEXT) | instid1(VALU_DEP_1)
	v_sub_nc_u16 v1, v121, v1
	v_and_b32_e32 v178, 0xff, v1
	v_and_b32_e32 v1, 0xffff, v124
	s_delay_alu instid0(VALU_DEP_2) | instskip(NEXT) | instid1(VALU_DEP_2)
	v_mul_u32_u24_e32 v0, 9, v178
	v_mul_u32_u24_e32 v1, 0xcccd, v1
	s_delay_alu instid0(VALU_DEP_2)
	v_lshlrev_b32_e32 v0, 4, v0
	s_clause 0x3
	global_load_b128 v[84:87], v0, s[4:5]
	global_load_b128 v[88:91], v0, s[4:5] offset:16
	global_load_b128 v[96:99], v0, s[4:5] offset:32
	;; [unrolled: 1-line block ×3, first 2 shown]
	v_lshrrev_b32_e32 v185, 19, v1
	s_clause 0x3
	global_load_b128 v[129:132], v0, s[4:5] offset:64
	global_load_b128 v[147:150], v0, s[4:5] offset:80
	;; [unrolled: 1-line block ×4, first 2 shown]
	v_mul_lo_u16 v1, v185, 10
	global_load_b128 v[187:190], v0, s[4:5] offset:128
	v_sub_nc_u16 v1, v124, v1
	s_delay_alu instid0(VALU_DEP_1) | instskip(NEXT) | instid1(VALU_DEP_1)
	v_and_b32_e32 v186, 0xffff, v1
	v_mul_u32_u24_e32 v0, 9, v186
	s_delay_alu instid0(VALU_DEP_1)
	v_lshlrev_b32_e32 v32, 4, v0
	s_clause 0x8
	global_load_b128 v[0:3], v32, s[4:5]
	global_load_b128 v[8:11], v32, s[4:5] offset:16
	global_load_b128 v[4:7], v32, s[4:5] offset:32
	global_load_b128 v[12:15], v32, s[4:5] offset:48
	global_load_b128 v[16:19], v32, s[4:5] offset:64
	global_load_b128 v[20:23], v32, s[4:5] offset:80
	global_load_b128 v[24:27], v32, s[4:5] offset:96
	global_load_b128 v[28:31], v32, s[4:5] offset:112
	global_load_b128 v[32:35], v32, s[4:5] offset:128
	ds_load_b128 v[100:103], v182
	ds_load_b128 v[104:107], v179 offset:11520
	ds_load_b128 v[110:113], v179 offset:17280
	;; [unrolled: 1-line block ×13, first 2 shown]
	s_wait_loadcnt_dscnt 0x1a0d
	v_mul_f64_e32 v[108:109], v[102:103], v[50:51]
	v_mul_f64_e32 v[50:51], v[100:101], v[50:51]
	s_wait_loadcnt_dscnt 0x190c
	v_mul_f64_e32 v[114:115], v[106:107], v[70:71]
	s_wait_loadcnt_dscnt 0x180b
	v_mul_f64_e32 v[141:142], v[112:113], v[66:67]
	v_mul_f64_e32 v[66:67], v[110:111], v[66:67]
	s_wait_loadcnt_dscnt 0x170a
	v_mul_f64_e32 v[143:144], v[127:128], v[58:59]
	v_mul_f64_e32 v[70:71], v[104:105], v[70:71]
	v_mul_f64_e32 v[58:59], v[125:126], v[58:59]
	s_wait_loadcnt_dscnt 0x1608
	v_mul_f64_e32 v[145:146], v[135:136], v[62:63]
	v_mul_f64_e32 v[62:63], v[133:134], v[62:63]
	s_wait_loadcnt_dscnt 0x1505
	v_mul_f64_e32 v[167:168], v[139:140], v[54:55]
	v_mul_f64_e32 v[54:55], v[137:138], v[54:55]
	s_wait_loadcnt_dscnt 0x1403
	v_mul_f64_e32 v[173:174], v[161:162], v[82:83]
	s_wait_loadcnt_dscnt 0x1301
	v_mul_f64_e32 v[215:216], v[193:194], v[78:79]
	v_mul_f64_e32 v[78:79], v[191:192], v[78:79]
	v_fma_f64 v[100:101], v[100:101], v[48:49], -v[108:109]
	v_fma_f64 v[102:103], v[102:103], v[48:49], v[50:51]
	ds_load_b128 v[199:202], v179 offset:51840
	ds_load_b128 v[48:51], v179 offset:38400
	v_fma_f64 v[108:109], v[104:105], v[68:69], -v[114:115]
	v_mul_f64_e32 v[114:115], v[159:160], v[82:83]
	v_fma_f64 v[82:83], v[112:113], v[64:65], v[66:67]
	v_fma_f64 v[112:113], v[125:126], v[56:57], -v[143:144]
	v_fma_f64 v[106:107], v[106:107], v[68:69], v[70:71]
	ds_load_b128 v[68:71], v179 offset:7680
	ds_load_b128 v[203:206], v179 offset:48000
	v_fma_f64 v[104:105], v[110:111], v[64:65], -v[141:142]
	v_fma_f64 v[110:111], v[127:128], v[56:57], v[58:59]
	ds_load_b128 v[56:59], v179 offset:49920
	ds_load_b128 v[207:210], v179 offset:13440
	;; [unrolled: 1-line block ×3, first 2 shown]
	v_fma_f64 v[143:144], v[133:134], v[60:61], -v[145:146]
	v_fma_f64 v[141:142], v[135:136], v[60:61], v[62:63]
	v_fma_f64 v[135:136], v[137:138], v[52:53], -v[167:168]
	v_fma_f64 v[133:134], v[139:140], v[52:53], v[54:55]
	v_fma_f64 v[139:140], v[159:160], v[80:81], -v[173:174]
	s_wait_loadcnt 0xf
	v_mul_f64_e32 v[173:174], v[153:154], v[98:99]
	ds_load_b128 v[52:55], v179
	ds_load_b128 v[64:67], v179 offset:15360
	s_wait_dscnt 0x8
	v_mul_f64_e32 v[125:126], v[201:202], v[74:75]
	v_mul_f64_e32 v[74:75], v[199:200], v[74:75]
	ds_load_b128 v[60:63], v179 offset:26880
	s_wait_dscnt 0x7
	v_mul_f64_e32 v[127:128], v[70:71], v[86:87]
	v_mul_f64_e32 v[145:146], v[68:69], v[86:87]
	v_fma_f64 v[86:87], v[193:194], v[76:77], v[78:79]
	v_mul_f64_e32 v[78:79], v[151:152], v[98:99]
	s_wait_dscnt 0x4
	v_mul_f64_e32 v[167:168], v[207:208], v[90:91]
	v_fma_f64 v[137:138], v[161:162], v[80:81], v[114:115]
	v_mul_f64_e32 v[80:81], v[209:210], v[90:91]
	v_fma_f64 v[90:91], v[191:192], v[76:77], -v[215:216]
	s_wait_loadcnt_dscnt 0xe03
	v_mul_f64_e32 v[215:216], v[213:214], v[94:95]
	ds_load_b128 v[159:162], v179 offset:42240
	ds_load_b128 v[191:194], v179 offset:53760
	v_fma_f64 v[114:115], v[199:200], v[72:73], -v[125:126]
	v_fma_f64 v[98:99], v[201:202], v[72:73], v[74:75]
	v_mul_f64_e32 v[72:73], v[211:212], v[94:95]
	s_wait_loadcnt 0xd
	v_mul_f64_e32 v[199:200], v[171:172], v[131:132]
	s_wait_loadcnt 0xc
	v_mul_f64_e32 v[201:202], v[197:198], v[149:150]
	v_mul_f64_e32 v[149:150], v[195:196], v[149:150]
	v_fma_f64 v[127:128], v[68:69], v[84:85], -v[127:128]
	v_fma_f64 v[125:126], v[70:71], v[84:85], v[145:146]
	v_mul_f64_e32 v[145:146], v[169:170], v[131:132]
	ds_load_b128 v[68:71], v179 offset:44160
	v_fma_f64 v[94:95], v[151:152], v[96:97], -v[173:174]
	s_wait_loadcnt 0x8
	v_mul_f64_e32 v[173:174], v[44:45], v[2:3]
	s_wait_loadcnt_dscnt 0x503
	v_mul_f64_e32 v[151:152], v[62:63], v[14:15]
	v_fma_f64 v[76:77], v[207:208], v[88:89], -v[80:81]
	v_fma_f64 v[80:81], v[209:210], v[88:89], v[167:168]
	s_wait_dscnt 0x2
	v_mul_f64_e32 v[207:208], v[161:162], v[157:158]
	v_mul_f64_e32 v[157:158], v[159:160], v[157:158]
	;; [unrolled: 1-line block ×4, first 2 shown]
	v_fma_f64 v[88:89], v[153:154], v[96:97], v[78:79]
	v_fma_f64 v[78:79], v[211:212], v[92:93], -v[215:216]
	v_mul_f64_e32 v[167:168], v[46:47], v[2:3]
	v_mul_f64_e32 v[153:154], v[60:61], v[14:15]
	v_fma_f64 v[84:85], v[213:214], v[92:93], v[72:73]
	ds_load_b128 v[72:75], v179 offset:55680
	s_wait_dscnt 0x2
	v_mul_f64_e32 v[211:212], v[193:194], v[189:190]
	v_mul_f64_e32 v[189:190], v[191:192], v[189:190]
	v_fma_f64 v[131:132], v[169:170], v[129:130], -v[199:200]
	v_mul_f64_e32 v[169:170], v[64:65], v[10:11]
	v_fma_f64 v[96:97], v[171:172], v[129:130], v[145:146]
	v_mul_f64_e32 v[171:172], v[66:67], v[10:11]
	v_mul_f64_e32 v[145:146], v[42:43], v[6:7]
	v_fma_f64 v[10:11], v[195:196], v[147:148], -v[201:202]
	v_fma_f64 v[92:93], v[197:198], v[147:148], v[149:150]
	s_wait_loadcnt 0x4
	v_mul_f64_e32 v[147:148], v[38:39], v[18:19]
	v_mul_f64_e32 v[149:150], v[40:41], v[6:7]
	v_fma_f64 v[46:47], v[46:47], v[0:1], v[173:174]
	v_add_f64_e32 v[173:174], v[52:53], v[108:109]
	v_fma_f64 v[60:61], v[60:61], v[12:13], -v[151:152]
	v_add_f64_e64 v[151:152], v[106:107], -v[86:87]
	v_add_f64_e64 v[195:196], v[82:83], -v[141:142]
	;; [unrolled: 1-line block ×4, first 2 shown]
	v_fma_f64 v[129:130], v[159:160], v[155:156], -v[207:208]
	v_fma_f64 v[14:15], v[161:162], v[155:156], v[157:158]
	v_mul_f64_e32 v[155:156], v[36:37], v[18:19]
	v_fma_f64 v[2:3], v[203:204], v[163:164], -v[209:210]
	v_fma_f64 v[18:19], v[205:206], v[163:164], v[165:166]
	s_wait_loadcnt 0x1
	v_mul_f64_e32 v[163:164], v[58:59], v[30:31]
	v_mul_f64_e32 v[30:31], v[56:57], v[30:31]
	;; [unrolled: 1-line block ×4, first 2 shown]
	s_wait_dscnt 0x1
	v_mul_f64_e32 v[161:162], v[70:71], v[26:27]
	v_mul_f64_e32 v[26:27], v[68:69], v[26:27]
	s_wait_loadcnt_dscnt 0x0
	v_mul_f64_e32 v[165:166], v[74:75], v[34:35]
	v_mul_f64_e32 v[34:35], v[72:73], v[34:35]
	v_fma_f64 v[62:63], v[62:63], v[12:13], v[153:154]
	v_add_f64_e64 v[203:204], v[141:142], -v[82:83]
	v_add_f64_e32 v[205:206], v[127:128], v[94:95]
	v_add_f64_e64 v[207:208], v[137:138], -v[98:99]
	v_fma_f64 v[22:23], v[191:192], v[187:188], -v[211:212]
	v_add_f64_e32 v[191:192], v[100:101], v[104:105]
	v_fma_f64 v[6:7], v[193:194], v[187:188], v[189:190]
	v_fma_f64 v[187:188], v[44:45], v[0:1], -v[167:168]
	v_add_f64_e32 v[189:190], v[54:55], v[106:107]
	v_fma_f64 v[171:172], v[64:65], v[8:9], -v[171:172]
	v_fma_f64 v[44:45], v[66:67], v[8:9], v[169:170]
	v_add_f64_e32 v[193:194], v[102:103], v[82:83]
	v_fma_f64 v[40:41], v[40:41], v[4:5], -v[145:146]
	v_add_f64_e32 v[145:146], v[108:109], v[90:91]
	v_fma_f64 v[42:43], v[42:43], v[4:5], v[149:150]
	v_fma_f64 v[147:148], v[36:37], v[16:17], -v[147:148]
	ds_load_b128 v[64:67], v122
	ds_load_b128 v[167:170], v183
	global_wb scope:SCOPE_SE
	s_wait_dscnt 0x0
	s_barrier_signal -1
	s_barrier_wait -1
	v_add_f64_e32 v[195:196], v[195:196], v[197:198]
	global_inv scope:SCOPE_SE
	v_fma_f64 v[149:150], v[38:39], v[16:17], v[155:156]
	v_add_f64_e64 v[209:210], v[80:81], -v[18:19]
	v_fma_f64 v[0:1], v[56:57], v[28:29], -v[163:164]
	v_fma_f64 v[8:9], v[58:59], v[28:29], v[30:31]
	v_add_f64_e32 v[28:29], v[141:142], v[137:138]
	v_fma_f64 v[16:17], v[48:49], v[20:21], -v[157:158]
	v_fma_f64 v[36:37], v[50:51], v[20:21], v[159:160]
	v_fma_f64 v[38:39], v[68:69], v[24:25], -v[161:162]
	v_fma_f64 v[20:21], v[70:71], v[24:25], v[26:27]
	;; [unrolled: 2-line block ×3, first 2 shown]
	v_add_f64_e32 v[24:25], v[112:113], v[135:136]
	v_add_f64_e32 v[26:27], v[106:107], v[86:87]
	;; [unrolled: 1-line block ×4, first 2 shown]
	v_add_f64_e64 v[34:35], v[108:109], -v[112:113]
	v_add_f64_e32 v[48:49], v[143:144], v[139:140]
	v_add_f64_e32 v[50:51], v[104:105], v[114:115]
	v_add_f64_e64 v[72:73], v[112:113], -v[108:109]
	v_add_f64_e64 v[74:75], v[112:113], -v[135:136]
	v_add_f64_e32 v[112:113], v[173:174], v[112:113]
	v_add_f64_e32 v[155:156], v[191:192], v[143:144]
	v_add_f64_e64 v[58:59], v[106:107], -v[110:111]
	v_add_f64_e64 v[70:71], v[108:109], -v[90:91]
	;; [unrolled: 1-line block ×3, first 2 shown]
	v_add_f64_e32 v[153:154], v[189:190], v[110:111]
	v_add_f64_e64 v[106:107], v[110:111], -v[106:107]
	v_add_f64_e64 v[110:111], v[110:111], -v[133:134]
	v_add_f64_e32 v[157:158], v[193:194], v[141:142]
	v_add_f64_e32 v[161:162], v[78:79], v[10:11]
	;; [unrolled: 1-line block ×4, first 2 shown]
	v_fma_f64 v[145:146], v[145:146], -0.5, v[52:53]
	v_add_f64_e64 v[189:190], v[104:105], -v[143:144]
	v_add_f64_e64 v[191:192], v[143:144], -v[139:140]
	;; [unrolled: 1-line block ×5, first 2 shown]
	v_add_f64_e32 v[201:202], v[66:67], v[80:81]
	v_add_f64_e64 v[159:160], v[133:134], -v[86:87]
	v_add_f64_e64 v[82:83], v[82:83], -v[98:99]
	;; [unrolled: 1-line block ×3, first 2 shown]
	v_fma_f64 v[28:29], v[28:29], -0.5, v[102:103]
	v_add_f64_e64 v[56:57], v[90:91], -v[135:136]
	v_add_f64_e64 v[68:69], v[86:87], -v[133:134]
	v_add_f64_e32 v[173:174], v[80:81], v[18:19]
	v_fma_f64 v[24:25], v[24:25], -0.5, v[52:53]
	v_fma_f64 v[26:27], v[26:27], -0.5, v[54:55]
	v_fma_f64 v[30:31], v[30:31], -0.5, v[54:55]
	v_fma_f64 v[32:33], v[32:33], -0.5, v[102:103]
	v_add_f64_e32 v[102:103], v[131:132], v[129:130]
	v_fma_f64 v[48:49], v[48:49], -0.5, v[100:101]
	v_fma_f64 v[50:51], v[50:51], -0.5, v[100:101]
	v_add_f64_e32 v[100:101], v[94:95], v[22:23]
	v_add_f64_e32 v[52:53], v[96:97], v[14:15]
	;; [unrolled: 1-line block ×8, first 2 shown]
	v_add_f64_e64 v[153:154], v[76:77], -v[78:79]
	v_add_f64_e64 v[155:156], v[2:3], -v[10:11]
	v_add_f64_e32 v[137:138], v[157:158], v[137:138]
	v_fma_f64 v[161:162], v[161:162], -0.5, v[64:65]
	v_fma_f64 v[64:65], v[163:164], -0.5, v[64:65]
	;; [unrolled: 1-line block ×3, first 2 shown]
	v_fma_f64 v[165:166], v[110:111], s[2:3], v[145:146]
	v_fma_f64 v[145:146], v[110:111], s[0:1], v[145:146]
	v_add_f64_e64 v[157:158], v[80:81], -v[84:85]
	v_add_f64_e32 v[143:144], v[143:144], v[199:200]
	v_add_f64_e32 v[199:200], v[203:204], v[207:208]
	;; [unrolled: 1-line block ×7, first 2 shown]
	v_fma_f64 v[201:202], v[104:105], s[2:3], v[28:29]
	v_fma_f64 v[28:29], v[104:105], s[0:1], v[28:29]
	v_add_f64_e32 v[34:35], v[34:35], v[56:57]
	v_fma_f64 v[66:67], v[173:174], -0.5, v[66:67]
	v_add_f64_e64 v[173:174], v[18:19], -v[92:93]
	v_add_f64_e64 v[56:57], v[94:95], -v[131:132]
	v_add_f64_e64 v[205:206], v[22:23], -v[129:130]
	v_add_f64_e32 v[58:59], v[58:59], v[68:69]
	v_fma_f64 v[197:198], v[74:75], s[0:1], v[26:27]
	v_fma_f64 v[26:27], v[74:75], s[2:3], v[26:27]
	;; [unrolled: 1-line block ×3, first 2 shown]
	v_fma_f64 v[102:103], v[102:103], -0.5, v[127:128]
	v_fma_f64 v[32:33], v[191:192], s[2:3], v[32:33]
	v_fma_f64 v[207:208], v[141:142], s[2:3], v[50:51]
	v_fma_f64 v[100:101], v[100:101], -0.5, v[127:128]
	v_fma_f64 v[127:128], v[82:83], s[0:1], v[48:49]
	v_fma_f64 v[50:51], v[141:142], s[0:1], v[50:51]
	v_fma_f64 v[52:53], v[52:53], -0.5, v[125:126]
	v_fma_f64 v[54:55], v[54:55], -0.5, v[125:126]
	v_add_f64_e64 v[125:126], v[88:89], -v[96:97]
	v_add_f64_e32 v[90:91], v[112:113], v[90:91]
	v_add_f64_e64 v[112:113], v[6:7], -v[14:15]
	v_add_f64_e32 v[114:115], v[139:140], v[114:115]
	;; [unrolled: 2-line block ×4, first 2 shown]
	v_fma_f64 v[137:138], v[151:152], s[0:1], v[24:25]
	v_fma_f64 v[24:25], v[151:152], s[2:3], v[24:25]
	;; [unrolled: 1-line block ×7, first 2 shown]
	v_add_f64_e32 v[193:194], v[193:194], v[96:97]
	v_add_f64_e64 v[96:97], v[96:97], -v[88:89]
	v_add_f64_e32 v[108:109], v[108:109], v[92:93]
	v_add_f64_e64 v[88:89], v[88:89], -v[6:7]
	v_fma_f64 v[201:202], v[191:192], s[10:11], v[201:202]
	v_add_f64_e64 v[131:132], v[131:132], -v[94:95]
	v_add_f64_e32 v[159:160], v[159:160], v[129:130]
	v_add_f64_e64 v[129:130], v[129:130], -v[22:23]
	v_add_f64_e32 v[135:136], v[135:136], v[78:79]
	v_add_f64_e64 v[94:95], v[94:95], -v[22:23]
	v_add_f64_e64 v[68:69], v[78:79], -v[10:11]
	v_add_f64_e32 v[153:154], v[153:154], v[155:156]
	v_fma_f64 v[197:198], v[70:71], s[10:11], v[197:198]
	v_fma_f64 v[70:71], v[70:71], s[6:7], v[26:27]
	;; [unrolled: 1-line block ×3, first 2 shown]
	v_add_f64_e32 v[155:156], v[157:158], v[173:174]
	v_fma_f64 v[32:33], v[104:105], s[6:7], v[32:33]
	v_fma_f64 v[207:208], v[82:83], s[6:7], v[207:208]
	v_add_f64_e64 v[80:81], v[84:85], -v[80:81]
	v_fma_f64 v[127:128], v[141:142], s[6:7], v[127:128]
	v_fma_f64 v[50:51], v[82:83], s[10:11], v[50:51]
	v_add_f64_e64 v[82:83], v[14:15], -v[6:7]
	v_add_f64_e64 v[84:85], v[84:85], -v[92:93]
	;; [unrolled: 1-line block ×4, first 2 shown]
	v_add_f64_e32 v[112:113], v[125:126], v[112:113]
	v_add_f64_e64 v[76:77], v[76:77], -v[2:3]
	v_fma_f64 v[125:126], v[139:140], s[2:3], v[100:101]
	v_fma_f64 v[100:101], v[139:140], s[0:1], v[100:101]
	;; [unrolled: 1-line block ×8, first 2 shown]
	v_add_f64_e32 v[24:25], v[90:91], v[114:115]
	v_fma_f64 v[137:138], v[74:75], s[10:11], v[151:152]
	v_fma_f64 v[74:75], v[74:75], s[6:7], v[30:31]
	v_add_f64_e32 v[26:27], v[86:87], v[98:99]
	v_add_f64_e64 v[28:29], v[90:91], -v[114:115]
	v_add_f64_e64 v[30:31], v[86:87], -v[98:99]
	v_add_f64_e32 v[86:87], v[108:109], v[18:19]
	v_fma_f64 v[90:91], v[88:89], s[0:1], v[102:103]
	v_fma_f64 v[98:99], v[195:196], s[12:13], v[201:202]
	;; [unrolled: 1-line block ×4, first 2 shown]
	v_add_f64_e32 v[114:115], v[147:148], v[38:39]
	v_add_f64_e32 v[145:146], v[149:150], v[20:21]
	;; [unrolled: 1-line block ×4, first 2 shown]
	v_fma_f64 v[151:152], v[106:107], s[12:13], v[197:198]
	v_fma_f64 v[70:71], v[106:107], s[12:13], v[70:71]
	v_add_f64_e32 v[135:136], v[135:136], v[10:11]
	v_add_f64_e32 v[165:166], v[40:41], v[12:13]
	v_add_f64_e64 v[10:11], v[10:11], -v[2:3]
	v_fma_f64 v[159:160], v[143:144], s[12:13], v[207:208]
	v_add_f64_e32 v[129:130], v[131:132], v[129:130]
	v_fma_f64 v[106:107], v[189:190], s[12:13], v[127:128]
	v_fma_f64 v[127:128], v[199:200], s[12:13], v[203:204]
	;; [unrolled: 1-line block ×3, first 2 shown]
	v_add_f64_e32 v[143:144], v[42:43], v[4:5]
	v_fma_f64 v[18:19], v[94:95], s[2:3], v[52:53]
	v_add_f64_e32 v[82:83], v[96:97], v[82:83]
	v_fma_f64 v[52:53], v[94:95], s[0:1], v[52:53]
	v_add_f64_e32 v[56:57], v[56:57], v[205:206]
	v_fma_f64 v[96:97], v[88:89], s[6:7], v[125:126]
	v_fma_f64 v[100:101], v[88:89], s[10:11], v[100:101]
	v_fma_f64 v[125:126], v[94:95], s[10:11], v[157:158]
	;; [unrolled: 1-line block ×12, first 2 shown]
	v_add_f64_e64 v[137:138], v[40:41], -v[12:13]
	v_fma_f64 v[131:132], v[84:85], s[2:3], v[64:65]
	v_fma_f64 v[34:35], v[139:140], s[6:7], v[90:91]
	v_mul_f64_e32 v[90:91], s[6:7], v[98:99]
	v_fma_f64 v[32:33], v[199:200], s[12:13], v[32:33]
	v_fma_f64 v[48:49], v[189:190], s[12:13], v[48:49]
	v_fma_f64 v[74:75], v[114:115], -0.5, v[187:188]
	v_fma_f64 v[114:115], v[145:146], -0.5, v[46:47]
	v_add_f64_e64 v[145:146], v[42:43], -v[4:5]
	v_fma_f64 v[141:142], v[195:196], s[12:13], v[141:142]
	v_add_f64_e32 v[6:7], v[14:15], v[6:7]
	v_add_f64_e64 v[14:15], v[147:148], -v[38:39]
	v_add_f64_e64 v[191:192], v[149:150], -v[20:21]
	v_fma_f64 v[165:166], v[165:166], -0.5, v[187:188]
	v_add_f64_e32 v[135:136], v[135:136], v[2:3]
	v_mul_f64_e32 v[2:3], s[2:3], v[159:160]
	v_add_f64_e32 v[10:11], v[78:79], v[10:11]
	v_mul_f64_e32 v[173:174], s[10:11], v[106:107]
	v_mul_f64_e32 v[189:190], s[0:1], v[127:128]
	v_add_f64_e32 v[78:79], v[80:81], v[92:93]
	v_fma_f64 v[143:144], v[143:144], -0.5, v[46:47]
	v_fma_f64 v[64:65], v[84:85], s[0:1], v[64:65]
	v_fma_f64 v[18:19], v[133:134], s[10:11], v[18:19]
	;; [unrolled: 1-line block ×3, first 2 shown]
	v_add_f64_e64 v[133:134], v[12:13], -v[38:39]
	v_fma_f64 v[80:81], v[129:130], s[12:13], v[96:97]
	v_fma_f64 v[92:93], v[129:130], s[12:13], v[100:101]
	v_mul_f64_e32 v[100:101], s[12:13], v[50:51]
	v_fma_f64 v[96:97], v[82:83], s[12:13], v[125:126]
	v_fma_f64 v[125:126], v[76:77], s[10:11], v[157:158]
	v_fma_f64 v[66:67], v[76:77], s[6:7], v[66:67]
	v_fma_f64 v[129:130], v[76:77], s[2:3], v[163:164]
	v_fma_f64 v[76:77], v[76:77], s[0:1], v[163:164]
	v_fma_f64 v[102:103], v[84:85], s[6:7], v[102:103]
	v_fma_f64 v[84:85], v[84:85], s[10:11], v[161:162]
	v_add_f64_e64 v[157:158], v[42:43], -v[149:150]
	v_add_f64_e64 v[161:162], v[4:5], -v[20:21]
	v_fma_f64 v[54:55], v[82:83], s[12:13], v[54:55]
	v_fma_f64 v[88:89], v[139:140], s[10:11], v[88:89]
	;; [unrolled: 1-line block ×5, first 2 shown]
	v_add_f64_e64 v[106:107], v[40:41], -v[147:148]
	v_mul_f64_e32 v[131:132], s[12:13], v[32:33]
	v_mul_f64_e32 v[139:140], s[14:15], v[48:49]
	v_fma_f64 v[163:164], v[137:138], s[2:3], v[114:115]
	v_fma_f64 v[193:194], v[145:146], s[0:1], v[74:75]
	v_add_f64_e64 v[195:196], v[149:150], -v[42:43]
	v_add_f64_e64 v[197:198], v[20:21], -v[4:5]
	v_add_f64_e32 v[203:204], v[171:172], v[0:1]
	v_add_f64_e32 v[205:206], v[60:61], v[16:17]
	v_fma_f64 v[201:202], v[191:192], s[2:3], v[165:166]
	v_add_f64_e32 v[207:208], v[62:63], v[36:37]
	v_fma_f64 v[2:3], v[127:128], s[12:13], v[2:3]
	v_mul_f64_e32 v[127:128], s[14:15], v[141:142]
	v_fma_f64 v[98:99], v[98:99], s[14:15], v[173:174]
	v_fma_f64 v[159:160], v[159:160], s[12:13], v[189:190]
	v_add_f64_e64 v[173:174], v[147:148], -v[40:41]
	v_add_f64_e64 v[189:190], v[38:39], -v[12:13]
	v_fma_f64 v[199:200], v[14:15], s[0:1], v[143:144]
	v_fma_f64 v[165:166], v[191:192], s[0:1], v[165:166]
	;; [unrolled: 1-line block ×6, first 2 shown]
	v_fma_f64 v[100:101], v[32:33], s[0:1], -v[100:101]
	v_add_f64_e32 v[32:33], v[44:45], v[8:9]
	v_add_f64_e32 v[40:41], v[187:188], v[40:41]
	;; [unrolled: 1-line block ×4, first 2 shown]
	v_fma_f64 v[129:130], v[68:69], s[10:11], v[129:130]
	v_fma_f64 v[68:69], v[68:69], s[6:7], v[76:77]
	;; [unrolled: 1-line block ×3, first 2 shown]
	v_mul_f64_e32 v[52:53], s[2:3], v[80:81]
	v_fma_f64 v[64:65], v[209:210], s[10:11], v[64:65]
	v_add_f64_e64 v[209:210], v[36:37], -v[8:9]
	v_fma_f64 v[56:57], v[56:57], s[12:13], v[88:89]
	v_mul_f64_e32 v[88:89], s[0:1], v[96:97]
	v_fma_f64 v[66:67], v[78:79], s[12:13], v[66:67]
	v_fma_f64 v[82:83], v[10:11], s[12:13], v[82:83]
	v_add_f64_e32 v[106:107], v[106:107], v[133:134]
	v_add_f64_e32 v[133:134], v[157:158], v[161:162]
	v_fma_f64 v[139:140], v[141:142], s[6:7], -v[139:140]
	v_fma_f64 v[157:158], v[14:15], s[10:11], v[163:164]
	v_fma_f64 v[161:162], v[191:192], s[6:7], v[193:194]
	v_add_f64_e32 v[163:164], v[169:170], v[44:45]
	v_mul_f64_e32 v[141:142], s[10:11], v[34:35]
	v_fma_f64 v[131:132], v[50:51], s[2:3], -v[131:132]
	v_fma_f64 v[84:85], v[153:154], s[12:13], v[84:85]
	v_fma_f64 v[193:194], v[145:146], s[6:7], v[201:202]
	v_add_f64_e64 v[201:202], v[171:172], -v[0:1]
	v_fma_f64 v[127:128], v[48:49], s[10:11], -v[127:128]
	v_fma_f64 v[48:49], v[205:206], -0.5, v[167:168]
	v_add_f64_e32 v[46:47], v[173:174], v[189:190]
	v_add_f64_e32 v[173:174], v[195:196], v[197:198]
	v_fma_f64 v[189:190], v[137:138], s[10:11], v[199:200]
	v_fma_f64 v[195:196], v[203:204], -0.5, v[167:168]
	v_add_f64_e64 v[197:198], v[62:63], -v[36:37]
	v_fma_f64 v[167:168], v[207:208], -0.5, v[169:170]
	v_add_f64_e64 v[199:200], v[44:45], -v[8:9]
	v_fma_f64 v[76:77], v[145:146], s[10:11], v[165:166]
	v_fma_f64 v[32:33], v[32:33], -0.5, v[169:170]
	v_add_f64_e64 v[169:170], v[60:61], -v[16:17]
	v_fma_f64 v[137:138], v[137:138], s[6:7], v[143:144]
	v_fma_f64 v[74:75], v[191:192], s[10:11], v[74:75]
	;; [unrolled: 1-line block ×3, first 2 shown]
	v_mul_f64_e32 v[50:51], s[6:7], v[18:19]
	v_add_f64_e32 v[147:148], v[40:41], v[147:148]
	v_add_f64_e32 v[165:166], v[187:188], v[60:61]
	v_mul_f64_e32 v[143:144], s[12:13], v[92:93]
	v_fma_f64 v[114:115], v[78:79], s[12:13], v[125:126]
	v_add_f64_e32 v[149:150], v[42:43], v[149:150]
	v_add_f64_e64 v[203:204], v[8:9], -v[36:37]
	v_fma_f64 v[96:97], v[96:97], s[12:13], v[52:53]
	v_add_f64_e64 v[42:43], v[94:95], -v[98:99]
	v_add_f64_e32 v[52:53], v[72:73], v[100:101]
	v_fma_f64 v[64:65], v[10:11], s[12:13], v[64:65]
	v_mul_f64_e32 v[10:11], s[12:13], v[54:55]
	v_fma_f64 v[145:146], v[133:134], s[12:13], v[157:158]
	v_fma_f64 v[157:158], v[106:107], s[12:13], v[161:162]
	v_add_f64_e32 v[161:162], v[163:164], v[62:63]
	v_fma_f64 v[125:126], v[18:19], s[14:15], v[141:142]
	v_add_f64_e64 v[18:19], v[171:172], -v[60:61]
	v_add_f64_e64 v[163:164], v[0:1], -v[16:17]
	;; [unrolled: 1-line block ×3, first 2 shown]
	v_mul_f64_e32 v[141:142], s[14:15], v[56:57]
	v_fma_f64 v[80:81], v[80:81], s[12:13], v[88:89]
	v_mul_f64_e32 v[88:89], s[14:15], v[112:113]
	v_add_f64_e64 v[40:41], v[104:105], -v[90:91]
	v_fma_f64 v[187:188], v[46:47], s[12:13], v[193:194]
	v_fma_f64 v[171:172], v[173:174], s[12:13], v[189:190]
	v_add_f64_e64 v[189:190], v[16:17], -v[0:1]
	v_fma_f64 v[191:192], v[197:198], s[2:3], v[195:196]
	v_fma_f64 v[193:194], v[197:198], s[0:1], v[195:196]
	;; [unrolled: 3-line block ×4, first 2 shown]
	v_fma_f64 v[76:77], v[46:47], s[12:13], v[76:77]
	v_fma_f64 v[137:138], v[173:174], s[12:13], v[137:138]
	;; [unrolled: 1-line block ×7, first 2 shown]
	v_add_f64_e32 v[34:35], v[94:95], v[98:99]
	v_add_f64_e32 v[98:99], v[147:148], v[38:39]
	v_fma_f64 v[133:134], v[54:55], s[0:1], -v[143:144]
	v_add_f64_e32 v[32:33], v[104:105], v[90:91]
	v_add_f64_e32 v[44:45], v[108:109], v[159:160]
	;; [unrolled: 1-line block ×3, first 2 shown]
	v_add_f64_e64 v[48:49], v[108:109], -v[159:160]
	v_add_f64_e64 v[50:51], v[151:152], -v[2:3]
	v_add_f64_e32 v[94:95], v[161:162], v[36:37]
	v_add_f64_e64 v[36:37], v[72:73], -v[100:101]
	v_add_f64_e32 v[72:73], v[165:166], v[16:17]
	v_add_f64_e32 v[54:55], v[70:71], v[131:132]
	v_mul_f64_e32 v[2:3], s[6:7], v[145:146]
	v_mul_f64_e32 v[90:91], s[10:11], v[157:158]
	v_add_f64_e64 v[38:39], v[70:71], -v[131:132]
	v_add_f64_e32 v[70:71], v[149:150], v[20:21]
	v_add_f64_e32 v[143:144], v[18:19], v[163:164]
	v_add_f64_e32 v[16:17], v[58:59], v[127:128]
	v_add_f64_e64 v[20:21], v[58:59], -v[127:128]
	v_mul_f64_e32 v[104:105], s[2:3], v[187:188]
	v_fma_f64 v[58:59], v[153:154], s[12:13], v[102:103]
	v_mul_f64_e32 v[100:101], s[0:1], v[171:172]
	v_add_f64_e32 v[60:61], v[60:61], v[189:190]
	v_fma_f64 v[108:109], v[199:200], s[6:7], v[191:192]
	v_fma_f64 v[131:132], v[199:200], s[10:11], v[193:194]
	v_add_f64_e32 v[147:148], v[195:196], v[203:204]
	v_fma_f64 v[149:150], v[197:198], s[6:7], v[205:206]
	v_fma_f64 v[151:152], v[169:170], s[10:11], v[207:208]
	;; [unrolled: 3-line block ×3, first 2 shown]
	v_mul_f64_e32 v[163:164], s[12:13], v[76:77]
	v_mul_f64_e32 v[165:166], s[12:13], v[137:138]
	v_fma_f64 v[173:174], v[197:198], s[10:11], v[173:174]
	v_fma_f64 v[167:168], v[169:170], s[6:7], v[167:168]
	v_mul_f64_e32 v[169:170], s[14:15], v[74:75]
	v_mul_f64_e32 v[189:190], s[14:15], v[106:107]
	v_fma_f64 v[102:103], v[155:156], s[12:13], v[129:130]
	v_add_f64_e32 v[14:15], v[110:111], v[139:140]
	v_add_f64_e32 v[12:13], v[98:99], v[12:13]
	v_add_f64_e64 v[18:19], v[110:111], -v[139:140]
	v_fma_f64 v[92:93], v[92:93], s[2:3], -v[10:11]
	v_fma_f64 v[110:111], v[155:156], s[12:13], v[68:69]
	v_fma_f64 v[112:113], v[112:113], s[6:7], -v[141:142]
	v_fma_f64 v[88:89], v[56:57], s[10:11], -v[88:89]
	v_and_b32_e32 v10, 0xffff, v176
	v_add_f64_e32 v[94:95], v[94:95], v[8:9]
	v_add_f64_e64 v[56:57], v[82:83], -v[80:81]
	v_add_f64_e32 v[129:130], v[72:73], v[0:1]
	v_add_f64_e32 v[0:1], v[135:136], v[22:23]
	v_fma_f64 v[127:128], v[157:158], s[14:15], v[2:3]
	v_fma_f64 v[90:91], v[145:146], s[14:15], v[90:91]
	v_mul_u32_u24_e32 v2, 0x640, v10
	v_add_f64_e32 v[98:99], v[70:71], v[4:5]
	v_lshlrev_b32_e32 v3, 4, v177
	v_add_f64_e64 v[4:5], v[135:136], -v[22:23]
	v_fma_f64 v[104:105], v[171:172], s[12:13], v[104:105]
	v_add_f64_e32 v[8:9], v[58:59], v[78:79]
	v_fma_f64 v[100:101], v[187:188], s[12:13], v[100:101]
	v_add3_u32 v157, 0, v2, v3
	v_fma_f64 v[108:109], v[60:61], s[12:13], v[108:109]
	v_fma_f64 v[131:132], v[60:61], s[12:13], v[131:132]
	v_add_f64_e32 v[2:3], v[86:87], v[6:7]
	v_fma_f64 v[139:140], v[143:144], s[12:13], v[149:150]
	v_fma_f64 v[141:142], v[147:148], s[12:13], v[151:152]
	ds_store_b128 v157, v[24:27]
	ds_store_b128 v157, v[32:35] offset:160
	v_fma_f64 v[145:146], v[62:63], s[12:13], v[159:160]
	v_fma_f64 v[149:150], v[62:63], s[12:13], v[161:162]
	v_fma_f64 v[137:138], v[137:138], s[0:1], -v[163:164]
	v_fma_f64 v[151:152], v[76:77], s[2:3], -v[165:166]
	v_fma_f64 v[143:144], v[143:144], s[12:13], v[173:174]
	v_fma_f64 v[147:148], v[147:148], s[12:13], v[167:168]
	v_fma_f64 v[153:154], v[106:107], s[6:7], -v[169:170]
	v_fma_f64 v[155:156], v[74:75], s[10:11], -v[189:190]
	v_add_f64_e32 v[10:11], v[102:103], v[125:126]
	v_add_f64_e32 v[32:33], v[82:83], v[80:81]
	v_add_f64_e64 v[6:7], v[86:87], -v[6:7]
	v_add_f64_e64 v[22:23], v[58:59], -v[78:79]
	;; [unrolled: 1-line block ×3, first 2 shown]
	v_add_f64_e32 v[34:35], v[114:115], v[96:97]
	v_add_f64_e32 v[60:61], v[64:65], v[133:134]
	v_add_f64_e32 v[62:63], v[66:67], v[92:93]
	v_add_f64_e64 v[64:65], v[64:65], -v[133:134]
	v_add_f64_e64 v[66:67], v[66:67], -v[92:93]
	v_add_f64_e32 v[68:69], v[84:85], v[112:113]
	v_add_f64_e32 v[76:77], v[129:130], v[12:13]
	v_add_f64_e64 v[80:81], v[129:130], -v[12:13]
	v_and_b32_e32 v12, 0xffff, v184
	v_add_f64_e32 v[70:71], v[110:111], v[88:89]
	v_add_f64_e64 v[74:75], v[110:111], -v[88:89]
	v_add_f64_e32 v[78:79], v[94:95], v[98:99]
	v_add_f64_e64 v[82:83], v[94:95], -v[98:99]
	v_add_f64_e64 v[58:59], v[114:115], -v[96:97]
	;; [unrolled: 1-line block ×3, first 2 shown]
	v_mul_u32_u24_e32 v12, 0x640, v12
	v_lshlrev_b32_e32 v13, 4, v178
	ds_store_b128 v157, v[44:47] offset:320
	ds_store_b128 v157, v[52:55] offset:480
	;; [unrolled: 1-line block ×4, first 2 shown]
	v_cmp_gt_u32_e64 s0, 0x64, v116
	v_add_f64_e32 v[92:93], v[108:109], v[100:101]
	v_add_f64_e64 v[96:97], v[108:109], -v[100:101]
	v_add3_u32 v12, 0, v12, v13
	v_add_f64_e64 v[88:89], v[139:140], -v[127:128]
	v_add_f64_e32 v[86:87], v[141:142], v[90:91]
	v_add_f64_e64 v[90:91], v[141:142], -v[90:91]
	v_add_f64_e32 v[94:95], v[145:146], v[104:105]
	;; [unrolled: 2-line block ×3, first 2 shown]
	v_add_f64_e32 v[102:103], v[149:150], v[151:152]
	v_add_f64_e64 v[108:109], v[131:132], -v[137:138]
	v_add_f64_e64 v[110:111], v[149:150], -v[151:152]
	v_add_f64_e32 v[104:105], v[143:144], v[153:154]
	v_add_f64_e32 v[106:107], v[147:148], v[155:156]
	v_add_f64_e32 v[84:85], v[139:140], v[127:128]
	v_add_f64_e64 v[112:113], v[143:144], -v[153:154]
	v_add_f64_e64 v[114:115], v[147:148], -v[155:156]
	ds_store_b128 v157, v[40:43] offset:960
	ds_store_b128 v157, v[48:51] offset:1120
	;; [unrolled: 1-line block ×4, first 2 shown]
	ds_store_b128 v12, v[0:3]
	ds_store_b128 v12, v[8:11] offset:160
	v_add_nc_u32_e32 v2, 0xffffff9c, v116
	v_mul_u32_u24_e32 v0, 0x640, v185
	v_dual_mov_b32 v126, 0 :: v_dual_lshlrev_b32 v1, 4, v186
	ds_store_b128 v12, v[32:35] offset:320
	ds_store_b128 v12, v[60:63] offset:480
	s_wait_alu 0xf1ff
	v_cndmask_b32_e64 v187, v2, v116, s0
	ds_store_b128 v12, v[68:71] offset:640
	ds_store_b128 v12, v[4:7] offset:800
	v_mul_i32_i24_e32 v125, 5, v187
	v_add3_u32 v3, 0, v0, v1
	ds_store_b128 v12, v[22:25] offset:960
	ds_store_b128 v12, v[56:59] offset:1120
	;; [unrolled: 1-line block ×4, first 2 shown]
	ds_store_b128 v3, v[76:79]
	ds_store_b128 v3, v[84:87] offset:160
	v_lshlrev_b64_e32 v[0:1], 4, v[125:126]
	ds_store_b128 v3, v[92:95] offset:320
	ds_store_b128 v3, v[100:103] offset:480
	ds_store_b128 v3, v[104:107] offset:640
	ds_store_b128 v3, v[80:83] offset:800
	ds_store_b128 v3, v[88:91] offset:960
	ds_store_b128 v3, v[96:99] offset:1120
	ds_store_b128 v3, v[108:111] offset:1280
	ds_store_b128 v3, v[112:115] offset:1440
	global_wb scope:SCOPE_SE
	s_wait_dscnt 0x0
	s_barrier_signal -1
	s_barrier_wait -1
	v_add_co_u32 v0, s0, s4, v0
	s_wait_alu 0xf1ff
	v_add_co_ci_u32_e64 v1, s0, s5, v1, s0
	global_inv scope:SCOPE_SE
	v_mul_lo_u16 v2, v175, 41
	v_lshrrev_b16 v10, 2, v120
	s_clause 0x3
	global_load_b128 v[80:83], v[0:1], off offset:1440
	global_load_b128 v[76:79], v[0:1], off offset:1456
	;; [unrolled: 1-line block ×4, first 2 shown]
	v_lshrrev_b16 v190, 12, v2
	global_load_b128 v[88:91], v[0:1], off offset:1504
	v_lshrrev_b16 v1, 2, v123
	v_cmp_lt_u32_e64 s0, 0x63, v116
	v_lshl_add_u32 v184, v120, 4, 0
	v_mul_lo_u16 v2, 0x64, v190
	s_mov_b32 s2, 0xe8584caa
	s_mov_b32 s3, 0x3febb67a
	;; [unrolled: 1-line block ×3, first 2 shown]
	s_wait_alu 0xfffe
	s_mov_b32 s6, s2
	v_sub_nc_u16 v2, v121, v2
	s_mov_b32 s1, exec_lo
	s_delay_alu instid0(VALU_DEP_1) | instskip(SKIP_1) | instid1(VALU_DEP_2)
	v_and_b32_e32 v191, 0xff, v2
	v_lshrrev_b16 v2, 2, v124
	v_mul_u32_u24_e32 v3, 5, v191
	s_delay_alu instid0(VALU_DEP_2) | instskip(NEXT) | instid1(VALU_DEP_2)
	v_and_b32_e32 v2, 0xffff, v2
	v_lshlrev_b32_e32 v3, 4, v3
	s_delay_alu instid0(VALU_DEP_2)
	v_mul_u32_u24_e32 v0, 0x147b, v2
	s_clause 0x3
	global_load_b128 v[104:107], v3, s[4:5] offset:1440
	global_load_b128 v[141:144], v3, s[4:5] offset:1456
	;; [unrolled: 1-line block ×4, first 2 shown]
	v_lshrrev_b32_e32 v125, 17, v0
	global_load_b128 v[193:196], v3, s[4:5] offset:1504
	v_mul_lo_u16 v0, 0x64, v125
	s_delay_alu instid0(VALU_DEP_1) | instskip(NEXT) | instid1(VALU_DEP_1)
	v_sub_nc_u16 v0, v124, v0
	v_and_b32_e32 v186, 0xffff, v0
	v_and_b32_e32 v0, 0xffff, v1
	s_delay_alu instid0(VALU_DEP_2) | instskip(NEXT) | instid1(VALU_DEP_2)
	v_mul_u32_u24_e32 v1, 5, v186
	v_mul_u32_u24_e32 v0, 0x147b, v0
	s_delay_alu instid0(VALU_DEP_2) | instskip(NEXT) | instid1(VALU_DEP_2)
	v_lshlrev_b32_e32 v8, 4, v1
	v_lshrrev_b32_e32 v185, 17, v0
	global_load_b128 v[4:7], v8, s[4:5] offset:1440
	v_mul_lo_u16 v9, 0x64, v185
	s_clause 0x3
	global_load_b128 v[0:3], v8, s[4:5] offset:1456
	global_load_b128 v[56:59], v8, s[4:5] offset:1472
	;; [unrolled: 1-line block ×4, first 2 shown]
	v_sub_nc_u16 v9, v123, v9
	s_delay_alu instid0(VALU_DEP_1) | instskip(SKIP_1) | instid1(VALU_DEP_2)
	v_and_b32_e32 v192, 0xffff, v9
	v_and_b32_e32 v9, 0xffff, v10
	v_mul_u32_u24_e32 v10, 5, v192
	s_delay_alu instid0(VALU_DEP_2) | instskip(NEXT) | instid1(VALU_DEP_2)
	v_mul_u32_u24_e32 v9, 0x147b, v9
	v_lshlrev_b32_e32 v12, 4, v10
	s_delay_alu instid0(VALU_DEP_2)
	v_lshrrev_b32_e32 v188, 17, v9
	global_load_b128 v[44:47], v12, s[4:5] offset:1440
	v_mul_lo_u16 v8, 0x64, v188
	s_clause 0x1
	global_load_b128 v[20:23], v12, s[4:5] offset:1456
	global_load_b128 v[16:19], v12, s[4:5] offset:1472
	v_sub_nc_u16 v8, v120, v8
	s_delay_alu instid0(VALU_DEP_1) | instskip(SKIP_2) | instid1(VALU_DEP_1)
	v_and_b32_e32 v189, 0xffff, v8
	global_load_b128 v[8:11], v12, s[4:5] offset:1488
	v_mul_u32_u24_e32 v13, 5, v189
	v_lshlrev_b32_e32 v40, 4, v13
	s_clause 0x5
	global_load_b128 v[12:15], v12, s[4:5] offset:1504
	global_load_b128 v[24:27], v40, s[4:5] offset:1440
	;; [unrolled: 1-line block ×6, first 2 shown]
	ds_load_b128 v[92:95], v179 offset:9600
	ds_load_b128 v[108:111], v179 offset:19200
	;; [unrolled: 1-line block ×4, first 2 shown]
	ds_load_b128 v[60:63], v179
	ds_load_b128 v[159:162], v179 offset:48000
	ds_load_b128 v[163:166], v179 offset:21120
	;; [unrolled: 1-line block ×9, first 2 shown]
	s_wait_loadcnt_dscnt 0x180d
	v_mul_f64_e32 v[96:97], v[94:95], v[82:83]
	v_mul_f64_e32 v[82:83], v[92:93], v[82:83]
	s_wait_loadcnt_dscnt 0x170c
	v_mul_f64_e32 v[112:113], v[110:111], v[78:79]
	v_mul_f64_e32 v[78:79], v[108:109], v[78:79]
	;; [unrolled: 3-line block ×6, first 2 shown]
	s_wait_loadcnt 0x12
	v_mul_f64_e32 v[211:212], v[165:166], v[143:144]
	v_mul_f64_e32 v[213:214], v[163:164], v[143:144]
	v_fma_f64 v[135:136], v[92:93], v[80:81], -v[96:97]
	v_fma_f64 v[137:138], v[94:95], v[80:81], v[82:83]
	ds_load_b128 v[92:95], v179 offset:51840
	s_wait_loadcnt_dscnt 0x1104
	v_mul_f64_e32 v[80:81], v[203:204], v[147:148]
	v_mul_f64_e32 v[82:83], v[201:202], v[147:148]
	v_fma_f64 v[133:134], v[108:109], v[76:77], -v[112:113]
	ds_load_b128 v[112:115], v179 offset:23040
	s_wait_loadcnt 0x10
	v_mul_f64_e32 v[215:216], v[199:200], v[157:158]
	v_mul_f64_e32 v[157:158], v[197:198], v[157:158]
	ds_load_b128 v[96:99], v179 offset:32640
	v_fma_f64 v[131:132], v[110:111], v[76:77], v[78:79]
	ds_load_b128 v[76:79], v179 offset:24960
	ds_load_b128 v[108:111], v179 offset:42240
	v_fma_f64 v[147:148], v[127:128], v[72:73], -v[139:140]
	v_fma_f64 v[149:150], v[129:130], v[72:73], v[74:75]
	ds_load_b128 v[72:75], v179 offset:44160
	v_fma_f64 v[139:140], v[151:152], v[84:85], -v[171:172]
	v_fma_f64 v[127:128], v[153:154], v[84:85], v[86:87]
	v_fma_f64 v[129:130], v[159:160], v[88:89], -v[173:174]
	s_wait_loadcnt_dscnt 0xf06
	v_mul_f64_e32 v[217:218], v[207:208], v[195:196]
	v_mul_f64_e32 v[195:196], v[205:206], v[195:196]
	ds_load_b128 v[84:87], v179 offset:34560
	v_fma_f64 v[143:144], v[167:168], v[104:105], -v[209:210]
	v_fma_f64 v[151:152], v[169:170], v[104:105], v[106:107]
	ds_load_b128 v[104:107], v179 offset:15360
	s_wait_loadcnt 0xe
	v_mul_f64_e32 v[175:176], v[102:103], v[6:7]
	v_mul_f64_e32 v[177:178], v[100:101], v[6:7]
	s_wait_loadcnt_dscnt 0xc05
	v_mul_f64_e32 v[167:168], v[98:99], v[58:59]
	v_mul_f64_e32 v[169:170], v[96:97], v[58:59]
	v_fma_f64 v[153:154], v[201:202], v[145:146], -v[80:81]
	v_fma_f64 v[145:146], v[203:204], v[145:146], v[82:83]
	ds_load_b128 v[80:83], v179 offset:17280
	v_mul_f64_e32 v[171:172], v[114:115], v[2:3]
	v_mul_f64_e32 v[173:174], v[112:113], v[2:3]
	v_fma_f64 v[58:59], v[163:164], v[141:142], -v[211:212]
	v_fma_f64 v[141:142], v[165:166], v[141:142], v[213:214]
	s_wait_loadcnt_dscnt 0xb04
	v_mul_f64_e32 v[163:164], v[110:111], v[54:55]
	v_mul_f64_e32 v[165:166], v[108:109], v[54:55]
	v_fma_f64 v[6:7], v[161:162], v[88:89], v[90:91]
	s_wait_loadcnt 0xa
	v_mul_f64_e32 v[159:160], v[94:95], v[50:51]
	v_mul_f64_e32 v[161:162], v[92:93], v[50:51]
	v_fma_f64 v[2:3], v[197:198], v[155:156], -v[215:216]
	v_fma_f64 v[50:51], v[199:200], v[155:156], v[157:158]
	ds_load_b128 v[88:91], v179 offset:53760
	s_wait_loadcnt_dscnt 0x902
	v_mul_f64_e32 v[155:156], v[106:107], v[46:47]
	v_mul_f64_e32 v[157:158], v[104:105], v[46:47]
	v_fma_f64 v[54:55], v[207:208], v[193:194], v[195:196]
	v_fma_f64 v[46:47], v[205:206], v[193:194], -v[217:218]
	v_cndmask_b32_e64 v197, 0, 0x2580, s0
	v_lshlrev_b32_e32 v210, 4, v191
	s_wait_loadcnt 0x6
	v_mul_f64_e32 v[195:196], v[74:75], v[10:11]
	v_mul_f64_e32 v[10:11], v[72:73], v[10:11]
	v_fma_f64 v[175:176], v[100:101], v[4:5], -v[175:176]
	v_fma_f64 v[4:5], v[102:103], v[4:5], v[177:178]
	ds_load_b128 v[100:103], v179 offset:36480
	v_fma_f64 v[96:97], v[96:97], v[56:57], -v[167:168]
	v_fma_f64 v[56:57], v[98:99], v[56:57], v[169:170]
	s_wait_loadcnt_dscnt 0x402
	v_mul_f64_e32 v[169:170], v[82:83], v[26:27]
	v_mul_f64_e32 v[26:27], v[80:81], v[26:27]
	v_fma_f64 v[171:172], v[112:113], v[0:1], -v[171:172]
	v_fma_f64 v[0:1], v[114:115], v[0:1], v[173:174]
	ds_load_b128 v[112:115], v179 offset:55680
	v_mul_f64_e32 v[193:194], v[86:87], v[18:19]
	v_fma_f64 v[108:109], v[108:109], v[52:53], -v[163:164]
	v_fma_f64 v[52:53], v[110:111], v[52:53], v[165:166]
	s_wait_loadcnt 0x3
	v_mul_f64_e32 v[110:111], v[66:67], v[30:31]
	v_mul_f64_e32 v[173:174], v[84:85], v[18:19]
	s_wait_dscnt 0x2
	v_mul_f64_e32 v[98:99], v[90:91], v[14:15]
	v_mul_f64_e32 v[167:168], v[88:89], v[14:15]
	v_mul_f64_e32 v[30:31], v[64:65], v[30:31]
	s_wait_loadcnt 0x2
	v_mul_f64_e32 v[163:164], v[70:71], v[34:35]
	v_fma_f64 v[92:93], v[92:93], v[48:49], -v[159:160]
	v_fma_f64 v[48:49], v[94:95], v[48:49], v[161:162]
	v_mul_f64_e32 v[34:35], v[68:69], v[34:35]
	s_wait_loadcnt_dscnt 0x101
	v_mul_f64_e32 v[94:95], v[102:103], v[38:39]
	v_mul_f64_e32 v[38:39], v[100:101], v[38:39]
	v_fma_f64 v[104:105], v[104:105], v[44:45], -v[155:156]
	v_mul_f64_e32 v[177:178], v[78:79], v[22:23]
	v_mul_f64_e32 v[22:23], v[76:77], v[22:23]
	v_lshlrev_b32_e32 v18, 4, v187
	v_fma_f64 v[106:107], v[106:107], v[44:45], v[157:158]
	s_wait_loadcnt_dscnt 0x0
	v_mul_f64_e32 v[159:160], v[114:115], v[42:43]
	v_mul_f64_e32 v[155:156], v[112:113], v[42:43]
	v_fma_f64 v[72:73], v[72:73], v[8:9], -v[195:196]
	v_fma_f64 v[8:9], v[74:75], v[8:9], v[10:11]
	v_add3_u32 v187, 0, v197, v18
	v_add_f64_e32 v[161:162], v[141:142], v[50:51]
	v_and_b32_e32 v14, 0xffff, v190
	s_delay_alu instid0(VALU_DEP_1)
	v_mul_u32_u24_e32 v209, 0x2580, v14
	v_fma_f64 v[74:75], v[80:81], v[24:25], -v[169:170]
	v_fma_f64 v[24:25], v[82:83], v[24:25], v[26:27]
	v_add_f64_e32 v[80:81], v[147:148], v[129:130]
	v_add_f64_e32 v[82:83], v[62:63], v[131:132]
	v_fma_f64 v[84:85], v[84:85], v[16:17], -v[193:194]
	v_add_f64_e32 v[165:166], v[0:1], v[52:53]
	v_fma_f64 v[26:27], v[64:65], v[28:29], -v[110:111]
	v_add_f64_e32 v[64:65], v[149:150], v[6:7]
	v_fma_f64 v[86:87], v[86:87], v[16:17], v[173:174]
	v_fma_f64 v[10:11], v[88:89], v[12:13], -v[98:99]
	v_fma_f64 v[12:13], v[90:91], v[12:13], v[167:168]
	v_fma_f64 v[28:29], v[66:67], v[28:29], v[30:31]
	v_fma_f64 v[30:31], v[68:69], v[32:33], -v[163:164]
	v_add_f64_e32 v[88:89], v[145:146], v[54:55]
	v_fma_f64 v[32:33], v[70:71], v[32:33], v[34:35]
	v_fma_f64 v[66:67], v[100:101], v[36:37], -v[94:95]
	v_fma_f64 v[36:37], v[102:103], v[36:37], v[38:39]
	v_add_f64_e32 v[70:71], v[60:61], v[133:134]
	v_fma_f64 v[157:158], v[76:77], v[20:21], -v[177:178]
	v_fma_f64 v[22:23], v[78:79], v[20:21], v[22:23]
	ds_load_b128 v[18:21], v122
	ds_load_b128 v[42:45], v183
	v_add_f64_e32 v[94:95], v[153:154], v[46:47]
	v_fma_f64 v[34:35], v[112:113], v[40:41], -v[159:160]
	v_fma_f64 v[40:41], v[114:115], v[40:41], v[155:156]
	v_add_f64_e32 v[100:101], v[96:97], v[92:93]
	v_add_f64_e32 v[110:111], v[56:57], v[48:49]
	;; [unrolled: 1-line block ×4, first 2 shown]
	v_add_f64_e64 v[147:148], v[147:148], -v[129:130]
	v_add_f64_e64 v[149:150], v[149:150], -v[6:7]
	v_add_f64_e32 v[38:39], v[133:134], v[139:140]
	v_add_f64_e32 v[68:69], v[131:132], v[127:128]
	;; [unrolled: 1-line block ×4, first 2 shown]
	v_add_f64_e64 v[133:134], v[133:134], -v[139:140]
	ds_load_b128 v[14:17], v182
	ds_load_b128 v[76:79], v184
	v_add_f64_e32 v[114:115], v[143:144], v[153:154]
	v_add_f64_e64 v[153:154], v[153:154], -v[46:47]
	v_fma_f64 v[80:81], v[80:81], -0.5, v[135:136]
	s_wait_dscnt 0x3
	v_add_f64_e32 v[102:103], v[18:19], v[58:59]
	v_add_f64_e32 v[112:113], v[20:21], v[141:142]
	s_wait_dscnt 0x2
	v_add_f64_e32 v[167:168], v[42:43], v[171:172]
	v_add_f64_e64 v[145:146], v[145:146], -v[54:55]
	v_add_f64_e32 v[169:170], v[44:45], v[0:1]
	v_add_f64_e32 v[177:178], v[4:5], v[56:57]
	v_fma_f64 v[64:65], v[64:65], -0.5, v[137:138]
	v_add_f64_e64 v[56:57], v[56:57], -v[48:49]
	v_add_f64_e32 v[201:202], v[84:85], v[10:11]
	v_add_f64_e32 v[203:204], v[86:87], v[12:13]
	v_add_f64_e64 v[205:206], v[0:1], -v[52:53]
	v_add_f64_e64 v[0:1], v[96:97], -v[92:93]
	v_fma_f64 v[88:89], v[88:89], -0.5, v[151:152]
	v_add_f64_e32 v[173:174], v[175:176], v[96:97]
	v_add_f64_e32 v[137:138], v[26:27], v[30:31]
	v_add_f64_e64 v[131:132], v[131:132], -v[127:128]
	v_add_f64_e32 v[70:71], v[70:71], v[139:140]
	v_add_f64_e32 v[199:200], v[104:105], v[84:85]
	;; [unrolled: 1-line block ×3, first 2 shown]
	s_wait_dscnt 0x1
	v_add_f64_e32 v[197:198], v[16:17], v[22:23]
	v_fma_f64 v[94:95], v[94:95], -0.5, v[143:144]
	v_add_f64_e32 v[151:152], v[66:67], v[34:35]
	v_add_f64_e32 v[139:140], v[36:37], v[40:41]
	v_fma_f64 v[100:101], v[100:101], -0.5, v[175:176]
	v_fma_f64 v[4:5], v[110:111], -0.5, v[4:5]
	v_add_f64_e32 v[175:176], v[74:75], v[66:67]
	v_add_f64_e64 v[96:97], v[22:23], -v[8:9]
	v_add_f64_e64 v[22:23], v[66:67], -v[34:35]
	v_add_f64_e32 v[66:67], v[82:83], v[127:128]
	v_add_f64_e32 v[82:83], v[90:91], v[129:130]
	;; [unrolled: 1-line block ×3, first 2 shown]
	v_fma_f64 v[38:39], v[38:39], -0.5, v[60:61]
	v_fma_f64 v[60:61], v[68:69], -0.5, v[62:63]
	v_add_f64_e32 v[62:63], v[28:29], v[32:33]
	s_wait_dscnt 0x0
	v_add_f64_e32 v[68:69], v[76:77], v[26:27]
	v_add_f64_e32 v[143:144], v[78:79], v[28:29]
	v_add_f64_e64 v[84:85], v[84:85], -v[10:11]
	v_fma_f64 v[127:128], v[149:150], s[2:3], v[80:81]
	v_add_f64_e64 v[86:87], v[86:87], -v[12:13]
	v_add_f64_e64 v[129:130], v[28:29], -v[32:33]
	;; [unrolled: 1-line block ×3, first 2 shown]
	v_add_f64_e32 v[195:196], v[14:15], v[157:158]
	v_add_f64_e32 v[110:111], v[24:25], v[36:37]
	v_add_f64_e64 v[36:37], v[36:37], -v[40:41]
	s_wait_alu 0xfffe
	v_fma_f64 v[90:91], v[147:148], s[6:7], v[64:65]
	v_add_f64_e32 v[6:7], v[98:99], v[6:7]
	v_fma_f64 v[28:29], v[201:202], -0.5, v[104:105]
	v_fma_f64 v[26:27], v[203:204], -0.5, v[106:107]
	v_add_f64_e32 v[98:99], v[102:103], v[2:3]
	v_fma_f64 v[102:103], v[159:160], -0.5, v[18:19]
	v_fma_f64 v[104:105], v[161:162], -0.5, v[20:21]
	v_fma_f64 v[64:65], v[147:148], s[2:3], v[64:65]
	v_add_f64_e32 v[163:164], v[171:172], v[108:109]
	v_add_f64_e32 v[190:191], v[157:158], v[72:73]
	v_add_f64_e64 v[141:142], v[141:142], -v[50:51]
	v_add_f64_e64 v[171:172], v[171:172], -v[108:109]
	v_add_f64_e32 v[50:51], v[112:113], v[50:51]
	v_add_f64_e32 v[46:47], v[114:115], v[46:47]
	v_add_f64_e32 v[54:55], v[155:156], v[54:55]
	v_fma_f64 v[20:21], v[151:152], -0.5, v[74:75]
	v_fma_f64 v[18:19], v[139:140], -0.5, v[24:25]
	v_fma_f64 v[74:75], v[149:150], s[6:7], v[80:81]
	v_add_f64_e32 v[24:25], v[167:168], v[108:109]
	v_fma_f64 v[108:109], v[153:154], s[6:7], v[88:89]
	v_fma_f64 v[112:113], v[145:146], s[2:3], v[94:95]
	;; [unrolled: 1-line block ×8, first 2 shown]
	v_add_f64_e32 v[80:81], v[173:174], v[92:93]
	v_fma_f64 v[76:77], v[137:138], -0.5, v[76:77]
	v_add_f64_e32 v[52:53], v[169:170], v[52:53]
	v_add_f64_e32 v[48:49], v[177:178], v[48:49]
	v_mul_f64_e32 v[149:150], s[6:7], v[127:128]
	v_fma_f64 v[62:63], v[62:63], -0.5, v[78:79]
	v_add_f64_e32 v[78:79], v[143:144], v[32:33]
	v_add_f64_e64 v[157:158], v[157:158], -v[72:73]
	v_add_f64_e32 v[72:73], v[195:196], v[72:73]
	v_add_f64_e32 v[114:115], v[197:198], v[8:9]
	;; [unrolled: 1-line block ×3, first 2 shown]
	v_mul_f64_e32 v[137:138], s[2:3], v[90:91]
	v_add_f64_e32 v[135:136], v[135:136], v[12:13]
	v_fma_f64 v[151:152], v[86:87], s[2:3], v[28:29]
	v_fma_f64 v[143:144], v[84:85], s[6:7], v[26:27]
	;; [unrolled: 1-line block ×4, first 2 shown]
	v_add_f64_e32 v[0:1], v[70:71], v[82:83]
	v_add_f64_e64 v[4:5], v[70:71], -v[82:83]
	v_add_f64_e32 v[110:111], v[110:111], v[40:41]
	v_mul_f64_e32 v[40:41], -0.5, v[64:65]
	v_add_f64_e64 v[58:59], v[58:59], -v[2:3]
	v_fma_f64 v[92:93], v[190:191], -0.5, v[14:15]
	v_add_f64_e32 v[2:3], v[66:67], v[6:7]
	v_add_f64_e32 v[8:9], v[98:99], v[46:47]
	;; [unrolled: 1-line block ×3, first 2 shown]
	v_fma_f64 v[159:160], v[36:37], s[2:3], v[20:21]
	v_fma_f64 v[155:156], v[22:23], s[6:7], v[18:19]
	v_fma_f64 v[70:71], v[36:37], s[6:7], v[20:21]
	v_fma_f64 v[82:83], v[22:23], s[2:3], v[18:19]
	v_mul_f64_e32 v[36:37], -0.5, v[74:75]
	v_add_f64_e64 v[12:13], v[98:99], -v[46:47]
	v_add_f64_e64 v[14:15], v[50:51], -v[54:55]
	v_mul_f64_e32 v[46:47], s[2:3], v[108:109]
	v_mul_f64_e32 v[50:51], s[6:7], v[112:113]
	v_add_f64_e64 v[6:7], v[66:67], -v[6:7]
	v_mul_f64_e32 v[54:55], -0.5, v[94:95]
	v_mul_f64_e32 v[66:67], -0.5, v[88:89]
	v_fma_f64 v[42:43], v[163:164], -0.5, v[42:43]
	v_fma_f64 v[44:45], v[165:166], -0.5, v[44:45]
	v_mul_f64_e32 v[98:99], s[2:3], v[145:146]
	v_mul_f64_e32 v[161:162], s[6:7], v[147:148]
	v_mul_f64_e32 v[163:164], -0.5, v[56:57]
	v_mul_f64_e32 v[165:166], -0.5, v[100:101]
	v_fma_f64 v[106:107], v[193:194], -0.5, v[16:17]
	v_add_f64_e32 v[16:17], v[24:25], v[80:81]
	v_add_f64_e64 v[20:21], v[24:25], -v[80:81]
	v_fma_f64 v[80:81], v[131:132], s[2:3], v[38:39]
	v_fma_f64 v[167:168], v[133:134], s[6:7], v[60:61]
	v_fma_f64 v[127:128], v[127:128], 0.5, v[137:138]
	v_fma_f64 v[90:91], v[90:91], 0.5, v[149:150]
	v_add_f64_e32 v[68:69], v[68:69], v[30:31]
	v_add_f64_e32 v[153:154], v[175:176], v[34:35]
	;; [unrolled: 1-line block ×3, first 2 shown]
	v_add_f64_e64 v[22:23], v[52:53], -v[48:49]
	v_mul_f64_e32 v[48:49], s[2:3], v[143:144]
	v_mul_f64_e32 v[52:53], s[6:7], v[151:152]
	v_add_f64_e32 v[24:25], v[72:73], v[139:140]
	v_add_f64_e32 v[26:27], v[114:115], v[135:136]
	v_add_f64_e64 v[28:29], v[72:73], -v[139:140]
	v_add_f64_e64 v[30:31], v[114:115], -v[135:136]
	v_mul_f64_e32 v[72:73], -0.5, v[86:87]
	v_mul_f64_e32 v[114:115], -0.5, v[84:85]
	v_fma_f64 v[131:132], v[131:132], s[6:7], v[38:39]
	v_mul_f64_e32 v[137:138], s[6:7], v[159:160]
	v_mul_f64_e32 v[135:136], s[2:3], v[155:156]
	v_mul_f64_e32 v[38:39], -0.5, v[70:71]
	v_mul_f64_e32 v[139:140], -0.5, v[82:83]
	v_fma_f64 v[60:61], v[133:134], s[2:3], v[60:61]
	v_fma_f64 v[64:65], v[64:65], s[2:3], v[36:37]
	;; [unrolled: 1-line block ×6, first 2 shown]
	v_fma_f64 v[112:113], v[112:113], 0.5, v[46:47]
	v_fma_f64 v[108:109], v[108:109], 0.5, v[50:51]
	v_fma_f64 v[104:105], v[58:59], s[2:3], v[104:105]
	v_fma_f64 v[88:89], v[88:89], s[2:3], v[54:55]
	v_fma_f64 v[94:95], v[94:95], s[6:7], v[66:67]
	v_fma_f64 v[149:150], v[205:206], s[2:3], v[42:43]
	v_fma_f64 v[173:174], v[171:172], s[6:7], v[44:45]
	v_fma_f64 v[98:99], v[147:148], 0.5, v[98:99]
	v_fma_f64 v[145:146], v[145:146], 0.5, v[161:162]
	v_fma_f64 v[169:170], v[205:206], s[6:7], v[42:43]
	v_fma_f64 v[171:172], v[171:172], s[2:3], v[44:45]
	;; [unrolled: 1-line block ×4, first 2 shown]
	v_add_f64_e32 v[40:41], v[80:81], v[127:128]
	v_add_f64_e32 v[42:43], v[167:168], v[90:91]
	v_fma_f64 v[161:162], v[157:158], s[6:7], v[106:107]
	v_add_f64_e32 v[32:33], v[68:69], v[153:154]
	v_add_f64_e64 v[36:37], v[68:69], -v[153:154]
	v_fma_f64 v[153:154], v[96:97], s[2:3], v[92:93]
	v_fma_f64 v[92:93], v[96:97], s[6:7], v[92:93]
	v_fma_f64 v[96:97], v[151:152], 0.5, v[48:49]
	v_fma_f64 v[143:144], v[143:144], 0.5, v[52:53]
	v_fma_f64 v[106:107], v[157:158], s[2:3], v[106:107]
	v_fma_f64 v[151:152], v[129:130], s[2:3], v[76:77]
	;; [unrolled: 1-line block ×6, first 2 shown]
	v_fma_f64 v[137:138], v[155:156], 0.5, v[137:138]
	v_fma_f64 v[135:136], v[159:160], 0.5, v[135:136]
	v_fma_f64 v[155:156], v[207:208], s[2:3], v[62:63]
	v_fma_f64 v[159:160], v[82:83], s[2:3], v[38:39]
	;; [unrolled: 1-line block ×3, first 2 shown]
	v_add_f64_e32 v[44:45], v[131:132], v[64:65]
	v_add_f64_e32 v[46:47], v[60:61], v[74:75]
	v_add_f64_e64 v[48:49], v[80:81], -v[127:128]
	v_add_f64_e64 v[50:51], v[167:168], -v[90:91]
	;; [unrolled: 1-line block ×6, first 2 shown]
	v_add_f64_e32 v[56:57], v[133:134], v[112:113]
	v_add_f64_e32 v[58:59], v[141:142], v[108:109]
	v_add_f64_e64 v[68:69], v[102:103], -v[88:89]
	v_add_f64_e64 v[70:71], v[104:105], -v[94:95]
	v_add_f64_e32 v[64:65], v[102:103], v[88:89]
	v_add_f64_e32 v[66:67], v[104:105], v[94:95]
	v_add_f64_e64 v[80:81], v[149:150], -v[98:99]
	v_add_f64_e64 v[82:83], v[173:174], -v[145:146]
	global_wb scope:SCOPE_SE
	s_barrier_signal -1
	s_barrier_wait -1
	global_inv scope:SCOPE_SE
	v_add_f64_e32 v[72:73], v[149:150], v[98:99]
	v_add_f64_e32 v[74:75], v[173:174], v[145:146]
	ds_store_b128 v187, v[0:3]
	ds_store_b128 v187, v[40:43] offset:1600
	v_add_f64_e64 v[0:1], v[169:170], -v[100:101]
	v_add_f64_e64 v[2:3], v[171:172], -v[147:148]
	v_add_f64_e32 v[34:35], v[78:79], v[110:111]
	v_add_f64_e64 v[38:39], v[78:79], -v[110:111]
	v_add_f64_e32 v[76:77], v[169:170], v[100:101]
	v_add_f64_e32 v[78:79], v[171:172], v[147:148]
	;; [unrolled: 1-line block ×6, first 2 shown]
	v_add_f64_e64 v[94:95], v[106:107], -v[114:115]
	v_add_f64_e64 v[84:85], v[153:154], -v[96:97]
	;; [unrolled: 1-line block ×3, first 2 shown]
	v_add_f64_e32 v[104:105], v[129:130], v[159:160]
	v_add_f64_e32 v[106:107], v[155:156], v[139:140]
	v_add_f64_e64 v[100:101], v[151:152], -v[135:136]
	v_add_f64_e64 v[102:103], v[163:164], -v[137:138]
	;; [unrolled: 1-line block ×5, first 2 shown]
	v_add_f64_e32 v[96:97], v[151:152], v[135:136]
	v_add_f64_e32 v[98:99], v[163:164], v[137:138]
	ds_store_b128 v187, v[44:47] offset:3200
	ds_store_b128 v187, v[4:7] offset:4800
	v_add3_u32 v4, 0, v209, v210
	v_mul_u32_u24_e32 v5, 0x2580, v125
	v_lshlrev_b32_e32 v6, 4, v186
	ds_store_b128 v187, v[48:51] offset:6400
	ds_store_b128 v187, v[52:55] offset:8000
	ds_store_b128 v4, v[8:11]
	ds_store_b128 v4, v[56:59] offset:1600
	ds_store_b128 v4, v[64:67] offset:3200
	;; [unrolled: 1-line block ×5, first 2 shown]
	v_add3_u32 v5, 0, v5, v6
	v_mul_u32_u24_e32 v4, 0x2580, v185
	v_lshlrev_b32_e32 v6, 4, v192
	ds_store_b128 v5, v[16:19]
	ds_store_b128 v5, v[72:75] offset:1600
	ds_store_b128 v5, v[76:79] offset:3200
	;; [unrolled: 1-line block ×3, first 2 shown]
	v_add3_u32 v4, 0, v4, v6
	v_mul_u32_u24_e32 v6, 0x2580, v188
	v_lshlrev_b32_e32 v7, 4, v189
	ds_store_b128 v5, v[80:83] offset:6400
	ds_store_b128 v5, v[0:3] offset:8000
	ds_store_b128 v4, v[24:27]
	ds_store_b128 v4, v[40:43] offset:1600
	v_mul_u32_u24_e32 v1, 5, v116
	v_mul_i32_i24_e32 v125, 5, v121
	v_add3_u32 v0, 0, v6, v7
	ds_store_b128 v4, v[88:91] offset:3200
	ds_store_b128 v4, v[28:31] offset:4800
	;; [unrolled: 1-line block ×4, first 2 shown]
	ds_store_b128 v0, v[32:35]
	ds_store_b128 v0, v[96:99] offset:1600
	v_lshlrev_b32_e32 v16, 4, v1
	ds_store_b128 v0, v[104:107] offset:3200
	ds_store_b128 v0, v[36:39] offset:4800
	;; [unrolled: 1-line block ×4, first 2 shown]
	global_wb scope:SCOPE_SE
	s_wait_dscnt 0x0
	s_barrier_signal -1
	s_barrier_wait -1
	global_inv scope:SCOPE_SE
	s_clause 0x3
	global_load_b128 v[12:15], v16, s[4:5] offset:9440
	global_load_b128 v[8:11], v16, s[4:5] offset:9456
	;; [unrolled: 1-line block ×4, first 2 shown]
	v_lshlrev_b64_e32 v[20:21], 4, v[125:126]
	global_load_b128 v[16:19], v16, s[4:5] offset:9504
	v_mul_i32_i24_e32 v125, 5, v124
	v_add_co_u32 v28, s0, s4, v20
	s_wait_alu 0xf1ff
	v_add_co_ci_u32_e64 v29, s0, s5, v21, s0
	s_clause 0x2
	global_load_b128 v[24:27], v[28:29], off offset:9440
	global_load_b128 v[20:23], v[28:29], off offset:9456
	;; [unrolled: 1-line block ×3, first 2 shown]
	v_lshlrev_b64_e32 v[40:41], 4, v[125:126]
	s_clause 0x1
	global_load_b128 v[32:35], v[28:29], off offset:9488
	global_load_b128 v[28:31], v[28:29], off offset:9504
	v_mul_i32_i24_e32 v125, 5, v123
	v_add_co_u32 v56, s0, s4, v40
	s_delay_alu instid0(VALU_DEP_2)
	v_lshlrev_b64_e32 v[48:49], 4, v[125:126]
	s_wait_alu 0xf1ff
	v_add_co_ci_u32_e64 v57, s0, s5, v41, s0
	s_clause 0x1
	global_load_b128 v[44:47], v[56:57], off offset:9456
	global_load_b128 v[40:43], v[56:57], off offset:9488
	v_add_co_u32 v58, s0, s4, v48
	s_wait_alu 0xf1ff
	v_add_co_ci_u32_e64 v59, s0, s5, v49, s0
	v_mul_i32_i24_e32 v125, 5, v120
	s_clause 0x1
	global_load_b128 v[48:51], v[58:59], off offset:9456
	global_load_b128 v[52:55], v[58:59], off offset:9488
	v_lshlrev_b64_e32 v[60:61], 4, v[125:126]
	s_delay_alu instid0(VALU_DEP_1) | instskip(SKIP_1) | instid1(VALU_DEP_2)
	v_add_co_u32 v72, s0, s4, v60
	s_wait_alu 0xf1ff
	v_add_co_ci_u32_e64 v73, s0, s5, v61, s0
	s_clause 0xa
	global_load_b128 v[92:95], v[72:73], off offset:9456
	global_load_b128 v[88:91], v[72:73], off offset:9488
	;; [unrolled: 1-line block ×11, first 2 shown]
	ds_load_b128 v[112:115], v179 offset:9600
	ds_load_b128 v[108:111], v179 offset:19200
	;; [unrolled: 1-line block ×4, first 2 shown]
	ds_load_b128 v[127:130], v179
	ds_load_b128 v[131:134], v179 offset:48000
	ds_load_b128 v[135:138], v179 offset:21120
	;; [unrolled: 1-line block ×12, first 2 shown]
	s_wait_loadcnt_dscnt 0x1810
	v_mul_f64_e32 v[185:186], v[114:115], v[14:15]
	v_mul_f64_e32 v[14:15], v[112:113], v[14:15]
	s_wait_loadcnt_dscnt 0x160e
	v_mul_f64_e32 v[189:190], v[106:107], v[6:7]
	v_mul_f64_e32 v[191:192], v[104:105], v[6:7]
	;; [unrolled: 1-line block ×4, first 2 shown]
	s_wait_loadcnt_dscnt 0x150d
	v_mul_f64_e32 v[193:194], v[102:103], v[2:3]
	v_mul_f64_e32 v[195:196], v[100:101], v[2:3]
	s_wait_loadcnt_dscnt 0x140b
	v_mul_f64_e32 v[197:198], v[133:134], v[18:19]
	v_mul_f64_e32 v[18:19], v[131:132], v[18:19]
	;; [unrolled: 3-line block ×3, first 2 shown]
	s_wait_loadcnt_dscnt 0x1007
	v_mul_f64_e32 v[201:202], v[147:148], v[34:35]
	v_fma_f64 v[112:113], v[112:113], v[12:13], -v[185:186]
	v_fma_f64 v[114:115], v[114:115], v[12:13], v[14:15]
	v_fma_f64 v[104:105], v[104:105], v[4:5], -v[189:190]
	v_fma_f64 v[106:107], v[106:107], v[4:5], v[191:192]
	ds_load_b128 v[2:5], v179 offset:24960
	v_mul_f64_e32 v[14:15], v[137:138], v[22:23]
	v_mul_f64_e32 v[22:23], v[135:136], v[22:23]
	s_wait_dscnt 0x7
	v_mul_f64_e32 v[185:186], v[153:154], v[38:39]
	v_mul_f64_e32 v[38:39], v[151:152], v[38:39]
	v_fma_f64 v[108:109], v[108:109], v[8:9], -v[187:188]
	v_mul_f64_e32 v[187:188], v[149:150], v[34:35]
	v_fma_f64 v[110:111], v[110:111], v[8:9], v[10:11]
	ds_load_b128 v[6:9], v179 offset:51840
	ds_load_b128 v[10:13], v179 offset:44160
	v_fma_f64 v[193:194], v[100:101], v[0:1], -v[193:194]
	v_fma_f64 v[195:196], v[102:103], v[0:1], v[195:196]
	s_wait_loadcnt_dscnt 0xe05
	v_mul_f64_e32 v[0:1], v[169:170], v[46:47]
	v_mul_f64_e32 v[46:47], v[167:168], v[46:47]
	;; [unrolled: 1-line block ×3, first 2 shown]
	v_fma_f64 v[131:132], v[131:132], v[16:17], -v[197:198]
	s_wait_loadcnt_dscnt 0xd03
	v_mul_f64_e32 v[197:198], v[177:178], v[42:43]
	v_mul_f64_e32 v[42:43], v[175:176], v[42:43]
	;; [unrolled: 1-line block ×3, first 2 shown]
	v_fma_f64 v[145:146], v[145:146], v[24:25], v[26:27]
	s_wait_loadcnt_dscnt 0xc02
	v_mul_f64_e32 v[203:204], v[4:5], v[50:51]
	v_mul_f64_e32 v[50:51], v[2:3], v[50:51]
	v_fma_f64 v[133:134], v[133:134], v[16:17], v[18:19]
	v_fma_f64 v[143:144], v[143:144], v[24:25], -v[199:200]
	v_fma_f64 v[149:150], v[149:150], v[32:33], v[201:202]
	s_wait_loadcnt_dscnt 0xb00
	v_mul_f64_e32 v[26:27], v[12:13], v[54:55]
	v_mul_f64_e32 v[54:55], v[10:11], v[54:55]
	v_fma_f64 v[135:136], v[135:136], v[20:21], -v[14:15]
	v_fma_f64 v[137:138], v[137:138], v[20:21], v[22:23]
	ds_load_b128 v[14:17], v179 offset:15360
	ds_load_b128 v[18:21], v179 offset:17280
	v_fma_f64 v[151:152], v[151:152], v[36:37], -v[185:186]
	v_fma_f64 v[153:154], v[153:154], v[36:37], v[38:39]
	ds_load_b128 v[22:25], v179 offset:34560
	ds_load_b128 v[34:37], v179 offset:36480
	v_fma_f64 v[147:148], v[147:148], v[32:33], -v[187:188]
	ds_load_b128 v[30:33], v179 offset:53760
	ds_load_b128 v[100:103], v179 offset:55680
	s_wait_loadcnt 0x9
	v_mul_f64_e32 v[185:186], v[157:158], v[90:91]
	s_wait_loadcnt 0x7
	v_mul_f64_e32 v[187:188], v[173:174], v[86:87]
	v_mul_f64_e32 v[86:87], v[171:172], v[86:87]
	v_fma_f64 v[167:168], v[167:168], v[44:45], -v[0:1]
	v_fma_f64 v[44:45], v[169:170], v[44:45], v[46:47]
	s_wait_loadcnt 0x6
	v_mul_f64_e32 v[46:47], v[8:9], v[82:83]
	v_mul_f64_e32 v[82:83], v[6:7], v[82:83]
	;; [unrolled: 1-line block ×3, first 2 shown]
	v_fma_f64 v[159:160], v[159:160], v[28:29], -v[189:190]
	v_fma_f64 v[42:43], v[177:178], v[40:41], v[42:43]
	v_fma_f64 v[161:162], v[161:162], v[28:29], v[191:192]
	v_fma_f64 v[189:190], v[2:3], v[48:49], -v[203:204]
	v_fma_f64 v[4:5], v[4:5], v[48:49], v[50:51]
	v_fma_f64 v[169:170], v[175:176], v[40:41], -v[197:198]
	v_mul_f64_e32 v[38:39], v[141:142], v[94:95]
	s_wait_loadcnt_dscnt 0x505
	v_mul_f64_e32 v[175:176], v[16:17], v[78:79]
	s_wait_loadcnt_dscnt 0x403
	v_mul_f64_e32 v[177:178], v[24:25], v[70:71]
	v_mul_f64_e32 v[70:71], v[22:23], v[70:71]
	s_wait_loadcnt_dscnt 0x301
	v_mul_f64_e32 v[48:49], v[32:33], v[66:67]
	v_mul_f64_e32 v[50:51], v[30:31], v[66:67]
	v_fma_f64 v[191:192], v[10:11], v[52:53], -v[26:27]
	v_fma_f64 v[52:53], v[12:13], v[52:53], v[54:55]
	s_wait_loadcnt 0x1
	v_mul_f64_e32 v[54:55], v[36:37], v[58:59]
	v_mul_f64_e32 v[58:59], v[34:35], v[58:59]
	s_wait_loadcnt_dscnt 0x0
	v_mul_f64_e32 v[197:198], v[102:103], v[74:75]
	v_mul_f64_e32 v[74:75], v[100:101], v[74:75]
	;; [unrolled: 1-line block ×8, first 2 shown]
	ds_load_b128 v[0:3], v122
	ds_load_b128 v[10:13], v183
	v_add_f64_e32 v[199:200], v[145:146], v[153:154]
	v_fma_f64 v[155:156], v[155:156], v[88:89], -v[185:186]
	v_fma_f64 v[6:7], v[6:7], v[80:81], -v[46:47]
	v_fma_f64 v[8:9], v[8:9], v[80:81], v[82:83]
	v_fma_f64 v[88:89], v[157:158], v[88:89], v[90:91]
	v_fma_f64 v[90:91], v[171:172], v[84:85], -v[187:188]
	v_fma_f64 v[84:85], v[173:174], v[84:85], v[86:87]
	v_add_f64_e32 v[82:83], v[153:154], v[161:162]
	v_add_f64_e64 v[153:154], v[153:154], -v[161:162]
	s_wait_dscnt 0x1
	v_add_f64_e32 v[80:81], v[2:3], v[137:138]
	v_fma_f64 v[139:140], v[139:140], v[92:93], -v[38:39]
	v_fma_f64 v[14:15], v[14:15], v[76:77], -v[175:176]
	;; [unrolled: 1-line block ×3, first 2 shown]
	v_fma_f64 v[24:25], v[24:25], v[68:69], v[70:71]
	v_fma_f64 v[30:31], v[30:31], v[64:65], -v[48:49]
	v_fma_f64 v[32:33], v[32:33], v[64:65], v[50:51]
	v_add_f64_e32 v[175:176], v[112:113], v[104:105]
	v_add_f64_e32 v[177:178], v[114:115], v[106:107]
	v_fma_f64 v[34:35], v[34:35], v[56:57], -v[54:55]
	v_fma_f64 v[36:37], v[36:37], v[56:57], v[58:59]
	v_fma_f64 v[46:47], v[100:101], v[72:73], -v[197:198]
	v_fma_f64 v[48:49], v[102:103], v[72:73], v[74:75]
	v_fma_f64 v[18:19], v[18:19], v[60:61], -v[66:67]
	v_add_f64_e32 v[66:67], v[106:107], v[133:134]
	v_add_f64_e32 v[74:75], v[104:105], v[131:132]
	;; [unrolled: 1-line block ×3, first 2 shown]
	v_fma_f64 v[163:164], v[163:164], v[96:97], -v[28:29]
	v_fma_f64 v[96:97], v[165:166], v[96:97], v[98:99]
	v_fma_f64 v[16:17], v[16:17], v[76:77], v[78:79]
	v_add_f64_e32 v[56:57], v[135:136], v[147:148]
	v_add_f64_e32 v[58:59], v[137:138], v[149:150]
	v_fma_f64 v[20:21], v[20:21], v[60:61], v[62:63]
	v_fma_f64 v[92:93], v[141:142], v[92:93], v[94:95]
	ds_load_b128 v[26:29], v182
	ds_load_b128 v[38:41], v184
	v_add_f64_e32 v[60:61], v[167:168], v[169:170]
	v_add_f64_e32 v[72:73], v[127:128], v[108:109]
	v_add_f64_e64 v[104:105], v[104:105], -v[131:132]
	v_add_f64_e64 v[106:107], v[106:107], -v[133:134]
	v_add_f64_e32 v[62:63], v[44:45], v[42:43]
	v_add_f64_e32 v[64:65], v[189:190], v[191:192]
	;; [unrolled: 1-line block ×7, first 2 shown]
	s_wait_dscnt 0x2
	v_add_f64_e32 v[86:87], v[10:11], v[167:168]
	v_add_f64_e32 v[94:95], v[12:13], v[44:45]
	;; [unrolled: 1-line block ×4, first 2 shown]
	v_add_f64_e64 v[151:152], v[151:152], -v[159:160]
	v_fma_f64 v[82:83], v[82:83], -0.5, v[145:146]
	v_add_f64_e64 v[209:210], v[4:5], -v[52:53]
	v_add_f64_e32 v[187:188], v[22:23], v[30:31]
	v_add_f64_e32 v[185:186], v[24:25], v[32:33]
	s_wait_dscnt 0x1
	v_add_f64_e32 v[102:103], v[28:29], v[4:5]
	v_add_f64_e64 v[4:5], v[22:23], -v[30:31]
	v_add_f64_e32 v[50:51], v[108:109], v[193:194]
	v_add_f64_e32 v[54:55], v[110:111], v[195:196]
	;; [unrolled: 1-line block ×5, first 2 shown]
	v_fma_f64 v[66:67], v[66:67], -0.5, v[114:115]
	v_fma_f64 v[74:75], v[74:75], -0.5, v[112:113]
	v_add_f64_e32 v[114:115], v[14:15], v[22:23]
	v_fma_f64 v[22:23], v[100:101], -0.5, v[143:144]
	v_add_f64_e32 v[201:202], v[163:164], v[90:91]
	v_add_f64_e32 v[203:204], v[96:97], v[84:85]
	v_add_f64_e64 v[90:91], v[90:91], -v[6:7]
	v_add_f64_e64 v[84:85], v[84:85], -v[8:9]
	v_add_f64_e32 v[112:113], v[16:17], v[24:25]
	v_add_f64_e64 v[24:25], v[24:25], -v[32:33]
	v_fma_f64 v[56:57], v[56:57], -0.5, v[0:1]
	v_fma_f64 v[58:59], v[58:59], -0.5, v[2:3]
	v_add_f64_e32 v[100:101], v[20:21], v[36:37]
	v_add_f64_e32 v[141:142], v[92:93], v[88:89]
	v_add_f64_e64 v[34:35], v[34:35], -v[46:47]
	v_add_f64_e64 v[36:37], v[36:37], -v[48:49]
	s_wait_dscnt 0x0
	v_add_f64_e32 v[157:158], v[38:39], v[139:140]
	v_fma_f64 v[60:61], v[60:61], -0.5, v[10:11]
	v_add_f64_e32 v[10:11], v[72:73], v[193:194]
	v_fma_f64 v[143:144], v[173:174], -0.5, v[163:164]
	v_fma_f64 v[96:97], v[171:172], -0.5, v[96:97]
	v_add_f64_e32 v[98:99], v[26:27], v[189:190]
	v_add_f64_e64 v[44:45], v[44:45], -v[42:43]
	v_fma_f64 v[62:63], v[62:63], -0.5, v[12:13]
	v_fma_f64 v[64:65], v[64:65], -0.5, v[26:27]
	;; [unrolled: 1-line block ×4, first 2 shown]
	v_add_f64_e32 v[12:13], v[76:77], v[195:196]
	v_add_f64_e32 v[26:27], v[78:79], v[147:148]
	v_fma_f64 v[2:3], v[187:188], -0.5, v[14:15]
	v_fma_f64 v[0:1], v[185:186], -0.5, v[16:17]
	v_add_f64_e32 v[14:15], v[175:176], v[131:132]
	v_add_f64_e32 v[16:17], v[177:178], v[133:134]
	;; [unrolled: 1-line block ×4, first 2 shown]
	v_fma_f64 v[18:19], v[207:208], -0.5, v[18:19]
	v_fma_f64 v[20:21], v[205:206], -0.5, v[20:21]
	v_add_f64_e32 v[78:79], v[199:200], v[161:162]
	v_fma_f64 v[70:71], v[104:105], s[6:7], v[66:67]
	v_fma_f64 v[72:73], v[106:107], s[2:3], v[74:75]
	;; [unrolled: 1-line block ×4, first 2 shown]
	v_add_f64_e32 v[80:81], v[86:87], v[169:170]
	v_add_f64_e32 v[42:43], v[94:95], v[42:43]
	v_fma_f64 v[86:87], v[151:152], s[6:7], v[82:83]
	v_fma_f64 v[94:95], v[153:154], s[2:3], v[22:23]
	v_fma_f64 v[50:51], v[50:51], -0.5, v[127:128]
	v_fma_f64 v[127:128], v[153:154], s[6:7], v[22:23]
	v_fma_f64 v[82:83], v[151:152], s[2:3], v[82:83]
	v_add_f64_e64 v[108:109], v[108:109], -v[193:194]
	v_add_f64_e64 v[110:111], v[110:111], -v[195:196]
	v_fma_f64 v[54:55], v[54:55], -0.5, v[129:130]
	v_add_f64_e32 v[52:53], v[102:103], v[52:53]
	v_add_f64_e32 v[165:166], v[40:41], v[92:93]
	v_add_f64_e64 v[135:136], v[135:136], -v[147:148]
	v_add_f64_e64 v[137:138], v[137:138], -v[149:150]
	v_add_f64_e32 v[30:31], v[114:115], v[30:31]
	v_fma_f64 v[129:130], v[84:85], s[2:3], v[143:144]
	v_fma_f64 v[102:103], v[90:91], s[6:7], v[96:97]
	v_fma_f64 v[84:85], v[84:85], s[6:7], v[143:144]
	v_fma_f64 v[90:91], v[90:91], s[2:3], v[96:97]
	v_add_f64_e32 v[32:33], v[112:113], v[32:33]
	v_add_f64_e32 v[48:49], v[100:101], v[48:49]
	v_fma_f64 v[40:41], v[141:142], -0.5, v[40:41]
	v_add_f64_e32 v[104:105], v[201:202], v[6:7]
	v_add_f64_e32 v[106:107], v[203:204], v[8:9]
	;; [unrolled: 1-line block ×3, first 2 shown]
	v_fma_f64 v[114:115], v[24:25], s[2:3], v[2:3]
	v_fma_f64 v[112:113], v[4:5], s[6:7], v[0:1]
	;; [unrolled: 1-line block ×4, first 2 shown]
	v_add_f64_e32 v[98:99], v[98:99], v[191:192]
	v_add_f64_e32 v[0:1], v[10:11], v[14:15]
	v_fma_f64 v[141:142], v[36:37], s[2:3], v[18:19]
	v_fma_f64 v[133:134], v[34:35], s[6:7], v[20:21]
	;; [unrolled: 1-line block ×4, first 2 shown]
	v_mul_f64_e32 v[34:35], s[2:3], v[70:71]
	v_mul_f64_e32 v[36:37], s[6:7], v[72:73]
	v_mul_f64_e32 v[147:148], -0.5, v[74:75]
	v_mul_f64_e32 v[149:150], -0.5, v[66:67]
	v_add_f64_e32 v[2:3], v[12:13], v[16:17]
	v_add_f64_e64 v[4:5], v[10:11], -v[14:15]
	v_add_f64_e64 v[6:7], v[12:13], -v[16:17]
	v_add_f64_e32 v[8:9], v[26:27], v[76:77]
	v_add_f64_e32 v[10:11], v[28:29], v[78:79]
	v_add_f64_e64 v[12:13], v[26:27], -v[76:77]
	v_add_f64_e64 v[14:15], v[28:29], -v[78:79]
	v_mul_f64_e32 v[76:77], s[2:3], v[86:87]
	v_mul_f64_e32 v[78:79], s[6:7], v[94:95]
	v_add_f64_e64 v[139:140], v[139:140], -v[155:156]
	v_add_f64_e32 v[96:97], v[157:158], v[155:156]
	v_mul_f64_e32 v[155:156], -0.5, v[127:128]
	v_mul_f64_e32 v[157:158], -0.5, v[82:83]
	v_add_f64_e64 v[167:168], v[167:168], -v[169:170]
	v_fma_f64 v[151:152], v[110:111], s[2:3], v[50:51]
	v_fma_f64 v[153:154], v[108:109], s[6:7], v[54:55]
	;; [unrolled: 1-line block ×4, first 2 shown]
	v_mul_f64_e32 v[50:51], s[2:3], v[102:103]
	v_mul_f64_e32 v[108:109], s[6:7], v[129:130]
	v_add_f64_e64 v[92:93], v[92:93], -v[88:89]
	v_add_f64_e32 v[88:89], v[165:166], v[88:89]
	v_mul_f64_e32 v[163:164], -0.5, v[84:85]
	v_mul_f64_e32 v[165:166], -0.5, v[90:91]
	v_add_f64_e64 v[189:190], v[189:190], -v[191:192]
	v_fma_f64 v[159:160], v[137:138], s[2:3], v[56:57]
	v_fma_f64 v[161:162], v[135:136], s[6:7], v[58:59]
	;; [unrolled: 1-line block ×4, first 2 shown]
	v_mul_f64_e32 v[56:57], s[2:3], v[112:113]
	v_mul_f64_e32 v[58:59], s[6:7], v[114:115]
	v_mul_f64_e32 v[169:170], -0.5, v[100:101]
	v_mul_f64_e32 v[171:172], -0.5, v[131:132]
	v_add_f64_e32 v[16:17], v[80:81], v[104:105]
	v_add_f64_e32 v[18:19], v[42:43], v[106:107]
	v_add_f64_e64 v[20:21], v[80:81], -v[104:105]
	v_add_f64_e64 v[22:23], v[42:43], -v[106:107]
	v_mul_f64_e32 v[42:43], s[2:3], v[133:134]
	v_mul_f64_e32 v[80:81], s[6:7], v[141:142]
	v_mul_f64_e32 v[104:105], -0.5, v[143:144]
	v_mul_f64_e32 v[106:107], -0.5, v[145:146]
	v_fma_f64 v[72:73], v[72:73], 0.5, v[34:35]
	v_fma_f64 v[70:71], v[70:71], 0.5, v[36:37]
	v_add_f64_e32 v[24:25], v[98:99], v[30:31]
	v_add_f64_e32 v[26:27], v[52:53], v[32:33]
	v_add_f64_e64 v[28:29], v[98:99], -v[30:31]
	v_add_f64_e64 v[30:31], v[52:53], -v[32:33]
	v_fma_f64 v[52:53], v[66:67], s[2:3], v[147:148]
	v_fma_f64 v[66:67], v[74:75], s[6:7], v[149:150]
	v_fma_f64 v[74:75], v[94:95], 0.5, v[76:77]
	v_fma_f64 v[76:77], v[86:87], 0.5, v[78:79]
	v_fma_f64 v[78:79], v[82:83], s[2:3], v[155:156]
	v_fma_f64 v[82:83], v[127:128], s[6:7], v[157:158]
	;; [unrolled: 1-line block ×5, first 2 shown]
	v_fma_f64 v[129:130], v[129:130], 0.5, v[50:51]
	v_fma_f64 v[102:103], v[102:103], 0.5, v[108:109]
	v_fma_f64 v[94:95], v[167:168], s[2:3], v[62:63]
	v_fma_f64 v[127:128], v[209:210], s[2:3], v[64:65]
	;; [unrolled: 1-line block ×9, first 2 shown]
	v_fma_f64 v[114:115], v[114:115], 0.5, v[56:57]
	v_fma_f64 v[112:113], v[112:113], 0.5, v[58:59]
	v_fma_f64 v[131:132], v[131:132], s[2:3], v[169:170]
	v_fma_f64 v[165:166], v[100:101], s[6:7], v[171:172]
	;; [unrolled: 1-line block ×4, first 2 shown]
	v_add_f64_e32 v[34:35], v[88:89], v[48:49]
	v_add_f64_e64 v[38:39], v[88:89], -v[48:49]
	v_fma_f64 v[141:142], v[141:142], 0.5, v[42:43]
	v_fma_f64 v[133:134], v[133:134], 0.5, v[80:81]
	v_fma_f64 v[145:146], v[145:146], s[2:3], v[104:105]
	v_fma_f64 v[143:144], v[143:144], s[6:7], v[106:107]
	v_add_f64_e32 v[40:41], v[151:152], v[72:73]
	v_add_f64_e32 v[42:43], v[153:154], v[70:71]
	;; [unrolled: 1-line block ×3, first 2 shown]
	v_add_f64_e64 v[36:37], v[96:97], -v[46:47]
	v_add_f64_e64 v[44:45], v[151:152], -v[72:73]
	;; [unrolled: 1-line block ×3, first 2 shown]
	v_add_f64_e32 v[48:49], v[110:111], v[52:53]
	v_add_f64_e32 v[50:51], v[54:55], v[66:67]
	v_add_f64_e64 v[52:53], v[110:111], -v[52:53]
	v_add_f64_e64 v[54:55], v[54:55], -v[66:67]
	v_add_f64_e32 v[56:57], v[159:160], v[74:75]
	v_add_f64_e32 v[58:59], v[161:162], v[76:77]
	v_add_f64_e32 v[64:65], v[137:138], v[78:79]
	v_add_f64_e32 v[66:67], v[135:136], v[82:83]
	v_add_f64_e64 v[60:61], v[159:160], -v[74:75]
	v_add_f64_e64 v[62:63], v[161:162], -v[76:77]
	v_add_f64_e64 v[68:69], v[137:138], -v[78:79]
	v_add_f64_e64 v[70:71], v[135:136], -v[82:83]
	v_add_f64_e32 v[72:73], v[98:99], v[129:130]
	v_add_f64_e32 v[74:75], v[147:148], v[102:103]
	v_add_f64_e32 v[80:81], v[86:87], v[90:91]
	v_add_f64_e32 v[82:83], v[94:95], v[157:158]
	v_add_f64_e64 v[76:77], v[98:99], -v[129:130]
	v_add_f64_e64 v[78:79], v[147:148], -v[102:103]
	;; [unrolled: 8-line block ×4, first 2 shown]
	v_add_f64_e64 v[127:128], v[169:170], -v[145:146]
	v_add_f64_e64 v[129:130], v[139:140], -v[143:144]
	global_wb scope:SCOPE_SE
	s_barrier_signal -1
	s_barrier_wait -1
	global_inv scope:SCOPE_SE
	ds_store_b128 v179, v[0:3]
	ds_store_b128 v179, v[40:43] offset:9600
	ds_store_b128 v179, v[4:7] offset:28800
	ds_store_b128 v179, v[48:51] offset:19200
	ds_store_b128 v179, v[44:47] offset:38400
	ds_store_b128 v179, v[52:55] offset:48000
	ds_store_b128 v122, v[8:11]
	ds_store_b128 v122, v[56:59] offset:9600
	ds_store_b128 v122, v[64:67] offset:19200
	ds_store_b128 v122, v[12:15] offset:28800
	ds_store_b128 v122, v[60:63] offset:38400
	ds_store_b128 v122, v[68:71] offset:48000
	;; [unrolled: 6-line block ×5, first 2 shown]
	global_wb scope:SCOPE_SE
	s_wait_dscnt 0x0
	s_barrier_signal -1
	s_barrier_wait -1
	global_inv scope:SCOPE_SE
	ds_load_b128 v[4:7], v179
	v_sub_nc_u32_e32 v12, 0, v117
                                        ; implicit-def: $vgpr2_vgpr3
                                        ; implicit-def: $vgpr10_vgpr11
                                        ; implicit-def: $vgpr8_vgpr9
	v_cmpx_ne_u32_e32 0, v116
	s_xor_b32 s1, exec_lo, s1
	s_cbranch_execz .LBB0_15
; %bb.14:
	v_mov_b32_e32 v117, v126
	s_delay_alu instid0(VALU_DEP_1) | instskip(NEXT) | instid1(VALU_DEP_1)
	v_lshlrev_b64_e32 v[0:1], 4, v[116:117]
	v_add_co_u32 v0, s0, s4, v0
	s_wait_alu 0xf1ff
	s_delay_alu instid0(VALU_DEP_2)
	v_add_co_ci_u32_e64 v1, s0, s5, v1, s0
	global_load_b128 v[8:11], v[0:1], off offset:57440
	ds_load_b128 v[0:3], v12 offset:57600
	s_wait_dscnt 0x0
	v_add_f64_e64 v[13:14], v[4:5], -v[0:1]
	v_add_f64_e32 v[15:16], v[6:7], v[2:3]
	v_add_f64_e64 v[2:3], v[6:7], -v[2:3]
	v_add_f64_e32 v[0:1], v[4:5], v[0:1]
	s_delay_alu instid0(VALU_DEP_4) | instskip(NEXT) | instid1(VALU_DEP_4)
	v_mul_f64_e32 v[6:7], 0.5, v[13:14]
	v_mul_f64_e32 v[4:5], 0.5, v[15:16]
	s_delay_alu instid0(VALU_DEP_4) | instskip(SKIP_1) | instid1(VALU_DEP_3)
	v_mul_f64_e32 v[2:3], 0.5, v[2:3]
	s_wait_loadcnt 0x0
	v_mul_f64_e32 v[13:14], v[6:7], v[10:11]
	s_delay_alu instid0(VALU_DEP_2) | instskip(SKIP_1) | instid1(VALU_DEP_3)
	v_fma_f64 v[15:16], v[4:5], v[10:11], v[2:3]
	v_fma_f64 v[2:3], v[4:5], v[10:11], -v[2:3]
	v_fma_f64 v[17:18], v[0:1], 0.5, v[13:14]
	v_fma_f64 v[0:1], v[0:1], 0.5, -v[13:14]
	s_delay_alu instid0(VALU_DEP_4) | instskip(NEXT) | instid1(VALU_DEP_4)
	v_fma_f64 v[10:11], -v[8:9], v[6:7], v[15:16]
	v_fma_f64 v[2:3], -v[8:9], v[6:7], v[2:3]
	s_delay_alu instid0(VALU_DEP_4) | instskip(NEXT) | instid1(VALU_DEP_4)
	v_fma_f64 v[13:14], v[4:5], v[8:9], v[17:18]
	v_fma_f64 v[0:1], -v[4:5], v[8:9], v[0:1]
	v_dual_mov_b32 v8, v116 :: v_dual_mov_b32 v9, v117
                                        ; implicit-def: $vgpr4_vgpr5
	ds_store_b64 v179, v[13:14]
.LBB0_15:
	s_wait_alu 0xfffe
	s_or_saveexec_b32 s0, s1
	v_mul_i32_i24_e32 v14, 0xffffff70, v121
	v_mul_i32_i24_e32 v13, 0xffffff70, v124
	s_wait_alu 0xfffe
	s_xor_b32 exec_lo, exec_lo, s0
	s_cbranch_execz .LBB0_17
; %bb.16:
	s_wait_dscnt 0x0
	v_add_f64_e32 v[15:16], v[4:5], v[6:7]
	v_add_f64_e64 v[0:1], v[4:5], -v[6:7]
	v_mov_b32_e32 v6, 0
	v_mov_b32_e32 v10, 0
	v_dual_mov_b32 v11, 0 :: v_dual_mov_b32 v8, 0
	s_delay_alu instid0(VALU_DEP_2)
	v_mov_b32_e32 v2, v10
	ds_load_b64 v[4:5], v6 offset:28808
	v_mov_b32_e32 v9, 0
	v_mov_b32_e32 v3, v11
	s_wait_dscnt 0x0
	v_xor_b32_e32 v5, 0x80000000, v5
	ds_store_b64 v179, v[15:16]
	ds_store_b64 v6, v[4:5] offset:28808
.LBB0_17:
	s_or_b32 exec_lo, exec_lo, s0
	v_mov_b32_e32 v122, 0
	v_add_nc_u32_e32 v14, v181, v14
	s_wait_dscnt 0x0
	s_delay_alu instid0(VALU_DEP_2) | instskip(SKIP_1) | instid1(VALU_DEP_1)
	v_lshlrev_b64_e32 v[4:5], 4, v[121:122]
	v_mov_b32_e32 v125, v122
	v_lshlrev_b64_e32 v[15:16], 4, v[124:125]
	s_delay_alu instid0(VALU_DEP_3) | instskip(SKIP_1) | instid1(VALU_DEP_4)
	v_add_co_u32 v4, s0, s4, v4
	s_wait_alu 0xf1ff
	v_add_co_ci_u32_e64 v5, s0, s5, v5, s0
	s_delay_alu instid0(VALU_DEP_3)
	v_add_co_u32 v15, s0, s4, v15
	global_load_b128 v[4:7], v[4:5], off offset:57440
	s_wait_alu 0xf1ff
	v_add_co_ci_u32_e64 v16, s0, s5, v16, s0
	global_load_b128 v[15:18], v[15:16], off offset:57440
	ds_store_b64 v179, v[10:11] offset:8
	ds_store_b128 v12, v[0:3] offset:57600
	ds_load_b128 v[0:3], v14
	ds_load_b128 v[19:22], v12 offset:55680
	s_wait_dscnt 0x0
	v_add_f64_e64 v[10:11], v[0:1], -v[19:20]
	v_add_f64_e32 v[23:24], v[2:3], v[21:22]
	v_add_f64_e64 v[2:3], v[2:3], -v[21:22]
	v_add_f64_e32 v[0:1], v[0:1], v[19:20]
	s_delay_alu instid0(VALU_DEP_4) | instskip(NEXT) | instid1(VALU_DEP_4)
	v_mul_f64_e32 v[10:11], 0.5, v[10:11]
	v_mul_f64_e32 v[21:22], 0.5, v[23:24]
	s_delay_alu instid0(VALU_DEP_4) | instskip(SKIP_1) | instid1(VALU_DEP_3)
	v_mul_f64_e32 v[2:3], 0.5, v[2:3]
	s_wait_loadcnt 0x1
	v_mul_f64_e32 v[19:20], v[10:11], v[6:7]
	s_delay_alu instid0(VALU_DEP_2) | instskip(SKIP_1) | instid1(VALU_DEP_3)
	v_fma_f64 v[23:24], v[21:22], v[6:7], v[2:3]
	v_fma_f64 v[6:7], v[21:22], v[6:7], -v[2:3]
	v_fma_f64 v[25:26], v[0:1], 0.5, v[19:20]
	v_fma_f64 v[19:20], v[0:1], 0.5, -v[19:20]
	s_delay_alu instid0(VALU_DEP_4) | instskip(NEXT) | instid1(VALU_DEP_4)
	v_fma_f64 v[2:3], -v[4:5], v[10:11], v[23:24]
	v_fma_f64 v[6:7], -v[4:5], v[10:11], v[6:7]
	s_delay_alu instid0(VALU_DEP_4) | instskip(NEXT) | instid1(VALU_DEP_4)
	v_fma_f64 v[0:1], v[21:22], v[4:5], v[25:26]
	v_fma_f64 v[4:5], -v[21:22], v[4:5], v[19:20]
	v_dual_mov_b32 v124, v122 :: v_dual_add_nc_u32 v25, v180, v13
	v_mov_b32_e32 v121, v122
	s_delay_alu instid0(VALU_DEP_2) | instskip(NEXT) | instid1(VALU_DEP_1)
	v_lshlrev_b64_e32 v[10:11], 4, v[123:124]
	v_add_co_u32 v10, s0, s4, v10
	s_wait_alu 0xf1ff
	s_delay_alu instid0(VALU_DEP_2)
	v_add_co_ci_u32_e64 v11, s0, s5, v11, s0
	global_load_b128 v[19:22], v[10:11], off offset:57440
	ds_store_b128 v14, v[0:3]
	ds_store_b128 v12, v[4:7] offset:55680
	ds_load_b128 v[0:3], v25
	ds_load_b128 v[4:7], v12 offset:53760
	s_wait_dscnt 0x0
	v_add_f64_e64 v[10:11], v[0:1], -v[4:5]
	v_add_f64_e32 v[13:14], v[2:3], v[6:7]
	v_add_f64_e64 v[2:3], v[2:3], -v[6:7]
	v_add_f64_e32 v[0:1], v[0:1], v[4:5]
	s_delay_alu instid0(VALU_DEP_4) | instskip(NEXT) | instid1(VALU_DEP_4)
	v_mul_f64_e32 v[6:7], 0.5, v[10:11]
	v_mul_f64_e32 v[10:11], 0.5, v[13:14]
	s_delay_alu instid0(VALU_DEP_4) | instskip(SKIP_1) | instid1(VALU_DEP_3)
	v_mul_f64_e32 v[2:3], 0.5, v[2:3]
	s_wait_loadcnt 0x1
	v_mul_f64_e32 v[4:5], v[6:7], v[17:18]
	s_delay_alu instid0(VALU_DEP_2) | instskip(SKIP_1) | instid1(VALU_DEP_3)
	v_fma_f64 v[13:14], v[10:11], v[17:18], v[2:3]
	v_fma_f64 v[17:18], v[10:11], v[17:18], -v[2:3]
	v_fma_f64 v[23:24], v[0:1], 0.5, v[4:5]
	v_fma_f64 v[4:5], v[0:1], 0.5, -v[4:5]
	s_delay_alu instid0(VALU_DEP_4) | instskip(NEXT) | instid1(VALU_DEP_4)
	v_fma_f64 v[2:3], -v[15:16], v[6:7], v[13:14]
	v_fma_f64 v[6:7], -v[15:16], v[6:7], v[17:18]
	s_delay_alu instid0(VALU_DEP_4) | instskip(NEXT) | instid1(VALU_DEP_4)
	v_fma_f64 v[0:1], v[10:11], v[15:16], v[23:24]
	v_fma_f64 v[4:5], -v[10:11], v[15:16], v[4:5]
	v_lshlrev_b64_e32 v[10:11], 4, v[120:121]
	s_delay_alu instid0(VALU_DEP_1) | instskip(SKIP_1) | instid1(VALU_DEP_2)
	v_add_co_u32 v10, s0, s4, v10
	s_wait_alu 0xf1ff
	v_add_co_ci_u32_e64 v11, s0, s5, v11, s0
	s_add_nc_u64 s[0:1], s[4:5], 0xe060
	global_load_b128 v[13:16], v[10:11], off offset:57440
	ds_store_b128 v25, v[0:3]
	ds_store_b128 v12, v[4:7] offset:53760
	ds_load_b128 v[0:3], v182
	ds_load_b128 v[4:7], v12 offset:51840
	s_wait_dscnt 0x0
	v_add_f64_e64 v[10:11], v[0:1], -v[4:5]
	v_add_f64_e32 v[17:18], v[2:3], v[6:7]
	v_add_f64_e64 v[2:3], v[2:3], -v[6:7]
	v_add_f64_e32 v[0:1], v[0:1], v[4:5]
	s_delay_alu instid0(VALU_DEP_4) | instskip(NEXT) | instid1(VALU_DEP_4)
	v_mul_f64_e32 v[10:11], 0.5, v[10:11]
	v_mul_f64_e32 v[17:18], 0.5, v[17:18]
	s_delay_alu instid0(VALU_DEP_4) | instskip(SKIP_1) | instid1(VALU_DEP_3)
	v_mul_f64_e32 v[2:3], 0.5, v[2:3]
	s_wait_loadcnt 0x1
	v_mul_f64_e32 v[4:5], v[10:11], v[21:22]
	s_delay_alu instid0(VALU_DEP_2) | instskip(SKIP_1) | instid1(VALU_DEP_3)
	v_fma_f64 v[6:7], v[17:18], v[21:22], v[2:3]
	v_fma_f64 v[2:3], v[17:18], v[21:22], -v[2:3]
	v_fma_f64 v[23:24], v[0:1], 0.5, v[4:5]
	v_fma_f64 v[0:1], v[0:1], 0.5, -v[4:5]
	s_delay_alu instid0(VALU_DEP_4) | instskip(NEXT) | instid1(VALU_DEP_4)
	v_fma_f64 v[6:7], -v[19:20], v[10:11], v[6:7]
	v_fma_f64 v[21:22], -v[19:20], v[10:11], v[2:3]
	s_delay_alu instid0(VALU_DEP_4) | instskip(NEXT) | instid1(VALU_DEP_4)
	v_fma_f64 v[4:5], v[17:18], v[19:20], v[23:24]
	v_fma_f64 v[19:20], -v[17:18], v[19:20], v[0:1]
	v_lshlrev_b64_e32 v[0:1], 4, v[8:9]
	s_wait_alu 0xfffe
	s_delay_alu instid0(VALU_DEP_1) | instskip(SKIP_1) | instid1(VALU_DEP_2)
	v_add_co_u32 v2, s0, s0, v0
	s_wait_alu 0xf1ff
	v_add_co_ci_u32_e64 v3, s0, s1, v1, s0
	global_load_b128 v[8:11], v[2:3], off offset:9600
	ds_store_b128 v182, v[4:7]
	ds_store_b128 v12, v[19:22] offset:51840
	ds_load_b128 v[4:7], v184
	ds_load_b128 v[17:20], v12 offset:49920
	s_wait_dscnt 0x0
	v_add_f64_e64 v[21:22], v[4:5], -v[17:18]
	v_add_f64_e32 v[23:24], v[6:7], v[19:20]
	v_add_f64_e64 v[6:7], v[6:7], -v[19:20]
	v_add_f64_e32 v[4:5], v[4:5], v[17:18]
	s_delay_alu instid0(VALU_DEP_4) | instskip(NEXT) | instid1(VALU_DEP_4)
	v_mul_f64_e32 v[19:20], 0.5, v[21:22]
	v_mul_f64_e32 v[21:22], 0.5, v[23:24]
	s_delay_alu instid0(VALU_DEP_4) | instskip(SKIP_1) | instid1(VALU_DEP_3)
	v_mul_f64_e32 v[6:7], 0.5, v[6:7]
	s_wait_loadcnt 0x1
	v_mul_f64_e32 v[17:18], v[19:20], v[15:16]
	s_delay_alu instid0(VALU_DEP_2) | instskip(SKIP_1) | instid1(VALU_DEP_3)
	v_fma_f64 v[23:24], v[21:22], v[15:16], v[6:7]
	v_fma_f64 v[15:16], v[21:22], v[15:16], -v[6:7]
	v_fma_f64 v[25:26], v[4:5], 0.5, v[17:18]
	v_fma_f64 v[17:18], v[4:5], 0.5, -v[17:18]
	s_delay_alu instid0(VALU_DEP_4) | instskip(NEXT) | instid1(VALU_DEP_4)
	v_fma_f64 v[6:7], -v[13:14], v[19:20], v[23:24]
	v_fma_f64 v[15:16], -v[13:14], v[19:20], v[15:16]
	s_delay_alu instid0(VALU_DEP_4) | instskip(NEXT) | instid1(VALU_DEP_4)
	v_fma_f64 v[4:5], v[21:22], v[13:14], v[25:26]
	v_fma_f64 v[13:14], -v[21:22], v[13:14], v[17:18]
	global_load_b128 v[17:20], v[2:3], off offset:11520
	ds_store_b128 v184, v[4:7]
	ds_store_b128 v12, v[13:16] offset:49920
	ds_load_b128 v[4:7], v179 offset:9600
	ds_load_b128 v[13:16], v12 offset:48000
	s_wait_dscnt 0x0
	v_add_f64_e64 v[21:22], v[4:5], -v[13:14]
	v_add_f64_e32 v[23:24], v[6:7], v[15:16]
	v_add_f64_e64 v[6:7], v[6:7], -v[15:16]
	v_add_f64_e32 v[4:5], v[4:5], v[13:14]
	s_delay_alu instid0(VALU_DEP_4) | instskip(NEXT) | instid1(VALU_DEP_4)
	v_mul_f64_e32 v[15:16], 0.5, v[21:22]
	v_mul_f64_e32 v[21:22], 0.5, v[23:24]
	s_delay_alu instid0(VALU_DEP_4) | instskip(SKIP_1) | instid1(VALU_DEP_3)
	v_mul_f64_e32 v[6:7], 0.5, v[6:7]
	s_wait_loadcnt 0x1
	v_mul_f64_e32 v[13:14], v[15:16], v[10:11]
	s_delay_alu instid0(VALU_DEP_2) | instskip(SKIP_1) | instid1(VALU_DEP_3)
	v_fma_f64 v[23:24], v[21:22], v[10:11], v[6:7]
	v_fma_f64 v[10:11], v[21:22], v[10:11], -v[6:7]
	v_fma_f64 v[25:26], v[4:5], 0.5, v[13:14]
	v_fma_f64 v[13:14], v[4:5], 0.5, -v[13:14]
	s_delay_alu instid0(VALU_DEP_4) | instskip(NEXT) | instid1(VALU_DEP_4)
	v_fma_f64 v[6:7], -v[8:9], v[15:16], v[23:24]
	v_fma_f64 v[10:11], -v[8:9], v[15:16], v[10:11]
	s_delay_alu instid0(VALU_DEP_4) | instskip(NEXT) | instid1(VALU_DEP_4)
	v_fma_f64 v[4:5], v[21:22], v[8:9], v[25:26]
	v_fma_f64 v[8:9], -v[21:22], v[8:9], v[13:14]
	global_load_b128 v[13:16], v[2:3], off offset:13440
	ds_store_b128 v179, v[4:7] offset:9600
	ds_store_b128 v12, v[8:11] offset:48000
	ds_load_b128 v[4:7], v179 offset:11520
	ds_load_b128 v[8:11], v12 offset:46080
	s_wait_dscnt 0x0
	v_add_f64_e64 v[21:22], v[4:5], -v[8:9]
	v_add_f64_e32 v[23:24], v[6:7], v[10:11]
	v_add_f64_e64 v[6:7], v[6:7], -v[10:11]
	v_add_f64_e32 v[4:5], v[4:5], v[8:9]
	s_delay_alu instid0(VALU_DEP_4) | instskip(NEXT) | instid1(VALU_DEP_4)
	v_mul_f64_e32 v[10:11], 0.5, v[21:22]
	v_mul_f64_e32 v[21:22], 0.5, v[23:24]
	s_delay_alu instid0(VALU_DEP_4) | instskip(SKIP_1) | instid1(VALU_DEP_3)
	v_mul_f64_e32 v[6:7], 0.5, v[6:7]
	s_wait_loadcnt 0x1
	v_mul_f64_e32 v[8:9], v[10:11], v[19:20]
	s_delay_alu instid0(VALU_DEP_2) | instskip(SKIP_1) | instid1(VALU_DEP_3)
	v_fma_f64 v[23:24], v[21:22], v[19:20], v[6:7]
	v_fma_f64 v[19:20], v[21:22], v[19:20], -v[6:7]
	v_fma_f64 v[25:26], v[4:5], 0.5, v[8:9]
	v_fma_f64 v[8:9], v[4:5], 0.5, -v[8:9]
	s_delay_alu instid0(VALU_DEP_4) | instskip(NEXT) | instid1(VALU_DEP_4)
	v_fma_f64 v[6:7], -v[17:18], v[10:11], v[23:24]
	v_fma_f64 v[10:11], -v[17:18], v[10:11], v[19:20]
	s_delay_alu instid0(VALU_DEP_4) | instskip(NEXT) | instid1(VALU_DEP_4)
	v_fma_f64 v[4:5], v[21:22], v[17:18], v[25:26]
	v_fma_f64 v[8:9], -v[21:22], v[17:18], v[8:9]
	global_load_b128 v[17:20], v[2:3], off offset:15360
	ds_store_b128 v179, v[4:7] offset:11520
	;; [unrolled: 28-line block ×8, first 2 shown]
	ds_store_b128 v12, v[8:11] offset:34560
	ds_load_b128 v[2:5], v179 offset:24960
	ds_load_b128 v[6:9], v12 offset:32640
	s_wait_dscnt 0x0
	v_add_f64_e64 v[10:11], v[2:3], -v[6:7]
	v_add_f64_e32 v[21:22], v[4:5], v[8:9]
	v_add_f64_e64 v[4:5], v[4:5], -v[8:9]
	v_add_f64_e32 v[2:3], v[2:3], v[6:7]
	s_delay_alu instid0(VALU_DEP_4) | instskip(NEXT) | instid1(VALU_DEP_4)
	v_mul_f64_e32 v[8:9], 0.5, v[10:11]
	v_mul_f64_e32 v[10:11], 0.5, v[21:22]
	s_delay_alu instid0(VALU_DEP_4) | instskip(SKIP_1) | instid1(VALU_DEP_3)
	v_mul_f64_e32 v[4:5], 0.5, v[4:5]
	s_wait_loadcnt 0x1
	v_mul_f64_e32 v[6:7], v[8:9], v[15:16]
	s_delay_alu instid0(VALU_DEP_2) | instskip(SKIP_1) | instid1(VALU_DEP_3)
	v_fma_f64 v[21:22], v[10:11], v[15:16], v[4:5]
	v_fma_f64 v[15:16], v[10:11], v[15:16], -v[4:5]
	v_fma_f64 v[23:24], v[2:3], 0.5, v[6:7]
	v_fma_f64 v[6:7], v[2:3], 0.5, -v[6:7]
	s_delay_alu instid0(VALU_DEP_4) | instskip(NEXT) | instid1(VALU_DEP_4)
	v_fma_f64 v[4:5], -v[13:14], v[8:9], v[21:22]
	v_fma_f64 v[8:9], -v[13:14], v[8:9], v[15:16]
	s_delay_alu instid0(VALU_DEP_4) | instskip(NEXT) | instid1(VALU_DEP_4)
	v_fma_f64 v[2:3], v[10:11], v[13:14], v[23:24]
	v_fma_f64 v[6:7], -v[10:11], v[13:14], v[6:7]
	ds_store_b128 v179, v[2:5] offset:24960
	ds_store_b128 v12, v[6:9] offset:32640
	ds_load_b128 v[2:5], v179 offset:26880
	ds_load_b128 v[6:9], v12 offset:30720
	s_wait_dscnt 0x0
	v_add_f64_e64 v[10:11], v[2:3], -v[6:7]
	v_add_f64_e32 v[13:14], v[4:5], v[8:9]
	v_add_f64_e64 v[4:5], v[4:5], -v[8:9]
	v_add_f64_e32 v[2:3], v[2:3], v[6:7]
	s_delay_alu instid0(VALU_DEP_4) | instskip(NEXT) | instid1(VALU_DEP_4)
	v_mul_f64_e32 v[8:9], 0.5, v[10:11]
	v_mul_f64_e32 v[10:11], 0.5, v[13:14]
	s_delay_alu instid0(VALU_DEP_4) | instskip(SKIP_1) | instid1(VALU_DEP_3)
	v_mul_f64_e32 v[4:5], 0.5, v[4:5]
	s_wait_loadcnt 0x0
	v_mul_f64_e32 v[6:7], v[8:9], v[19:20]
	s_delay_alu instid0(VALU_DEP_2) | instskip(SKIP_1) | instid1(VALU_DEP_3)
	v_fma_f64 v[13:14], v[10:11], v[19:20], v[4:5]
	v_fma_f64 v[15:16], v[10:11], v[19:20], -v[4:5]
	v_fma_f64 v[19:20], v[2:3], 0.5, v[6:7]
	v_fma_f64 v[6:7], v[2:3], 0.5, -v[6:7]
	s_delay_alu instid0(VALU_DEP_4) | instskip(NEXT) | instid1(VALU_DEP_4)
	v_fma_f64 v[4:5], -v[17:18], v[8:9], v[13:14]
	v_fma_f64 v[8:9], -v[17:18], v[8:9], v[15:16]
	s_delay_alu instid0(VALU_DEP_4) | instskip(NEXT) | instid1(VALU_DEP_4)
	v_fma_f64 v[2:3], v[10:11], v[17:18], v[19:20]
	v_fma_f64 v[6:7], -v[10:11], v[17:18], v[6:7]
	ds_store_b128 v179, v[2:5] offset:26880
	ds_store_b128 v12, v[6:9] offset:30720
	global_wb scope:SCOPE_SE
	s_wait_dscnt 0x0
	s_barrier_signal -1
	s_barrier_wait -1
	global_inv scope:SCOPE_SE
	s_and_saveexec_b32 s0, vcc_lo
	s_cbranch_execz .LBB0_20
; %bb.18:
	ds_load_b128 v[4:7], v179
	ds_load_b128 v[8:11], v179 offset:1920
	ds_load_b128 v[12:15], v179 offset:3840
	;; [unrolled: 1-line block ×9, first 2 shown]
	v_add_co_u32 v2, vcc_lo, s8, v118
	s_wait_alu 0xfffd
	v_add_co_ci_u32_e32 v3, vcc_lo, s9, v119, vcc_lo
	s_delay_alu instid0(VALU_DEP_2) | instskip(SKIP_1) | instid1(VALU_DEP_2)
	v_add_co_u32 v0, vcc_lo, v2, v0
	s_wait_alu 0xfffd
	v_add_co_ci_u32_e32 v1, vcc_lo, v3, v1, vcc_lo
	v_cmp_eq_u32_e32 vcc_lo, 0x77, v116
	s_wait_dscnt 0x9
	global_store_b128 v[0:1], v[4:7], off
	s_wait_dscnt 0x8
	global_store_b128 v[0:1], v[8:11], off offset:1920
	s_wait_dscnt 0x7
	global_store_b128 v[0:1], v[12:15], off offset:3840
	;; [unrolled: 2-line block ×9, first 2 shown]
	ds_load_b128 v[4:7], v179 offset:19200
	ds_load_b128 v[8:11], v179 offset:21120
	;; [unrolled: 1-line block ×20, first 2 shown]
	s_wait_dscnt 0x13
	global_store_b128 v[0:1], v[4:7], off offset:19200
	s_wait_dscnt 0x12
	global_store_b128 v[0:1], v[8:11], off offset:21120
	s_wait_dscnt 0x11
	global_store_b128 v[0:1], v[12:15], off offset:23040
	s_wait_dscnt 0x10
	global_store_b128 v[0:1], v[16:19], off offset:24960
	s_wait_dscnt 0xf
	global_store_b128 v[0:1], v[20:23], off offset:26880
	s_wait_dscnt 0xe
	global_store_b128 v[0:1], v[24:27], off offset:28800
	s_wait_dscnt 0xd
	global_store_b128 v[0:1], v[28:31], off offset:30720
	s_wait_dscnt 0xc
	global_store_b128 v[0:1], v[32:35], off offset:32640
	s_wait_dscnt 0xb
	global_store_b128 v[0:1], v[36:39], off offset:34560
	s_wait_dscnt 0xa
	global_store_b128 v[0:1], v[40:43], off offset:36480
	s_wait_dscnt 0x9
	global_store_b128 v[0:1], v[44:47], off offset:38400
	s_wait_dscnt 0x8
	global_store_b128 v[0:1], v[48:51], off offset:40320
	s_wait_dscnt 0x7
	global_store_b128 v[0:1], v[52:55], off offset:42240
	s_wait_dscnt 0x6
	global_store_b128 v[0:1], v[56:59], off offset:44160
	s_wait_dscnt 0x5
	global_store_b128 v[0:1], v[60:63], off offset:46080
	s_wait_dscnt 0x4
	global_store_b128 v[0:1], v[64:67], off offset:48000
	s_wait_dscnt 0x3
	global_store_b128 v[0:1], v[68:71], off offset:49920
	s_wait_dscnt 0x2
	global_store_b128 v[0:1], v[72:75], off offset:51840
	s_wait_dscnt 0x1
	global_store_b128 v[0:1], v[76:79], off offset:53760
	s_wait_dscnt 0x0
	global_store_b128 v[0:1], v[80:83], off offset:55680
	s_and_b32 exec_lo, exec_lo, vcc_lo
	s_cbranch_execz .LBB0_20
; %bb.19:
	v_mov_b32_e32 v0, 0
	ds_load_b128 v[4:7], v0 offset:57600
	s_wait_dscnt 0x0
	global_store_b128 v[2:3], v[4:7], off offset:57600
.LBB0_20:
	s_nop 0
	s_sendmsg sendmsg(MSG_DEALLOC_VGPRS)
	s_endpgm
	.section	.rodata,"a",@progbits
	.p2align	6, 0x0
	.amdhsa_kernel fft_rtc_fwd_len3600_factors_10_10_6_6_wgs_120_tpt_120_halfLds_dp_ip_CI_unitstride_sbrr_R2C_dirReg
		.amdhsa_group_segment_fixed_size 0
		.amdhsa_private_segment_fixed_size 0
		.amdhsa_kernarg_size 88
		.amdhsa_user_sgpr_count 2
		.amdhsa_user_sgpr_dispatch_ptr 0
		.amdhsa_user_sgpr_queue_ptr 0
		.amdhsa_user_sgpr_kernarg_segment_ptr 1
		.amdhsa_user_sgpr_dispatch_id 0
		.amdhsa_user_sgpr_private_segment_size 0
		.amdhsa_wavefront_size32 1
		.amdhsa_uses_dynamic_stack 0
		.amdhsa_enable_private_segment 0
		.amdhsa_system_sgpr_workgroup_id_x 1
		.amdhsa_system_sgpr_workgroup_id_y 0
		.amdhsa_system_sgpr_workgroup_id_z 0
		.amdhsa_system_sgpr_workgroup_info 0
		.amdhsa_system_vgpr_workitem_id 0
		.amdhsa_next_free_vgpr 224
		.amdhsa_next_free_sgpr 32
		.amdhsa_reserve_vcc 1
		.amdhsa_float_round_mode_32 0
		.amdhsa_float_round_mode_16_64 0
		.amdhsa_float_denorm_mode_32 3
		.amdhsa_float_denorm_mode_16_64 3
		.amdhsa_fp16_overflow 0
		.amdhsa_workgroup_processor_mode 1
		.amdhsa_memory_ordered 1
		.amdhsa_forward_progress 0
		.amdhsa_round_robin_scheduling 0
		.amdhsa_exception_fp_ieee_invalid_op 0
		.amdhsa_exception_fp_denorm_src 0
		.amdhsa_exception_fp_ieee_div_zero 0
		.amdhsa_exception_fp_ieee_overflow 0
		.amdhsa_exception_fp_ieee_underflow 0
		.amdhsa_exception_fp_ieee_inexact 0
		.amdhsa_exception_int_div_zero 0
	.end_amdhsa_kernel
	.text
.Lfunc_end0:
	.size	fft_rtc_fwd_len3600_factors_10_10_6_6_wgs_120_tpt_120_halfLds_dp_ip_CI_unitstride_sbrr_R2C_dirReg, .Lfunc_end0-fft_rtc_fwd_len3600_factors_10_10_6_6_wgs_120_tpt_120_halfLds_dp_ip_CI_unitstride_sbrr_R2C_dirReg
                                        ; -- End function
	.section	.AMDGPU.csdata,"",@progbits
; Kernel info:
; codeLenInByte = 21400
; NumSgprs: 34
; NumVgprs: 224
; ScratchSize: 0
; MemoryBound: 0
; FloatMode: 240
; IeeeMode: 1
; LDSByteSize: 0 bytes/workgroup (compile time only)
; SGPRBlocks: 4
; VGPRBlocks: 27
; NumSGPRsForWavesPerEU: 34
; NumVGPRsForWavesPerEU: 224
; Occupancy: 6
; WaveLimiterHint : 1
; COMPUTE_PGM_RSRC2:SCRATCH_EN: 0
; COMPUTE_PGM_RSRC2:USER_SGPR: 2
; COMPUTE_PGM_RSRC2:TRAP_HANDLER: 0
; COMPUTE_PGM_RSRC2:TGID_X_EN: 1
; COMPUTE_PGM_RSRC2:TGID_Y_EN: 0
; COMPUTE_PGM_RSRC2:TGID_Z_EN: 0
; COMPUTE_PGM_RSRC2:TIDIG_COMP_CNT: 0
	.text
	.p2alignl 7, 3214868480
	.fill 96, 4, 3214868480
	.type	__hip_cuid_605e6a5356080cb2,@object ; @__hip_cuid_605e6a5356080cb2
	.section	.bss,"aw",@nobits
	.globl	__hip_cuid_605e6a5356080cb2
__hip_cuid_605e6a5356080cb2:
	.byte	0                               ; 0x0
	.size	__hip_cuid_605e6a5356080cb2, 1

	.ident	"AMD clang version 19.0.0git (https://github.com/RadeonOpenCompute/llvm-project roc-6.4.0 25133 c7fe45cf4b819c5991fe208aaa96edf142730f1d)"
	.section	".note.GNU-stack","",@progbits
	.addrsig
	.addrsig_sym __hip_cuid_605e6a5356080cb2
	.amdgpu_metadata
---
amdhsa.kernels:
  - .args:
      - .actual_access:  read_only
        .address_space:  global
        .offset:         0
        .size:           8
        .value_kind:     global_buffer
      - .offset:         8
        .size:           8
        .value_kind:     by_value
      - .actual_access:  read_only
        .address_space:  global
        .offset:         16
        .size:           8
        .value_kind:     global_buffer
      - .actual_access:  read_only
        .address_space:  global
        .offset:         24
        .size:           8
        .value_kind:     global_buffer
      - .offset:         32
        .size:           8
        .value_kind:     by_value
      - .actual_access:  read_only
        .address_space:  global
        .offset:         40
        .size:           8
        .value_kind:     global_buffer
      - .actual_access:  read_only
        .address_space:  global
        .offset:         48
        .size:           8
        .value_kind:     global_buffer
      - .offset:         56
        .size:           4
        .value_kind:     by_value
      - .actual_access:  read_only
        .address_space:  global
        .offset:         64
        .size:           8
        .value_kind:     global_buffer
      - .actual_access:  read_only
        .address_space:  global
        .offset:         72
        .size:           8
        .value_kind:     global_buffer
      - .address_space:  global
        .offset:         80
        .size:           8
        .value_kind:     global_buffer
    .group_segment_fixed_size: 0
    .kernarg_segment_align: 8
    .kernarg_segment_size: 88
    .language:       OpenCL C
    .language_version:
      - 2
      - 0
    .max_flat_workgroup_size: 120
    .name:           fft_rtc_fwd_len3600_factors_10_10_6_6_wgs_120_tpt_120_halfLds_dp_ip_CI_unitstride_sbrr_R2C_dirReg
    .private_segment_fixed_size: 0
    .sgpr_count:     34
    .sgpr_spill_count: 0
    .symbol:         fft_rtc_fwd_len3600_factors_10_10_6_6_wgs_120_tpt_120_halfLds_dp_ip_CI_unitstride_sbrr_R2C_dirReg.kd
    .uniform_work_group_size: 1
    .uses_dynamic_stack: false
    .vgpr_count:     224
    .vgpr_spill_count: 0
    .wavefront_size: 32
    .workgroup_processor_mode: 1
amdhsa.target:   amdgcn-amd-amdhsa--gfx1201
amdhsa.version:
  - 1
  - 2
...

	.end_amdgpu_metadata
